;; amdgpu-corpus repo=ROCm/rocFFT kind=compiled arch=gfx1100 opt=O3
	.text
	.amdgcn_target "amdgcn-amd-amdhsa--gfx1100"
	.amdhsa_code_object_version 6
	.protected	fft_rtc_back_len1248_factors_2_2_13_2_3_2_2_wgs_52_tpt_52_halfLds_sp_ip_CI_unitstride_sbrr_dirReg ; -- Begin function fft_rtc_back_len1248_factors_2_2_13_2_3_2_2_wgs_52_tpt_52_halfLds_sp_ip_CI_unitstride_sbrr_dirReg
	.globl	fft_rtc_back_len1248_factors_2_2_13_2_3_2_2_wgs_52_tpt_52_halfLds_sp_ip_CI_unitstride_sbrr_dirReg
	.p2align	8
	.type	fft_rtc_back_len1248_factors_2_2_13_2_3_2_2_wgs_52_tpt_52_halfLds_sp_ip_CI_unitstride_sbrr_dirReg,@function
fft_rtc_back_len1248_factors_2_2_13_2_3_2_2_wgs_52_tpt_52_halfLds_sp_ip_CI_unitstride_sbrr_dirReg: ; @fft_rtc_back_len1248_factors_2_2_13_2_3_2_2_wgs_52_tpt_52_halfLds_sp_ip_CI_unitstride_sbrr_dirReg
; %bb.0:
	s_clause 0x2
	s_load_b128 s[4:7], s[0:1], 0x0
	s_load_b64 s[8:9], s[0:1], 0x50
	s_load_b64 s[10:11], s[0:1], 0x18
	v_mul_u32_u24_e32 v1, 0x4ed, v0
	v_mov_b32_e32 v3, 0
	s_delay_alu instid0(VALU_DEP_2) | instskip(NEXT) | instid1(VALU_DEP_1)
	v_lshrrev_b32_e32 v1, 16, v1
	v_add_nc_u32_e32 v5, s15, v1
	v_mov_b32_e32 v1, 0
	v_mov_b32_e32 v2, 0
	;; [unrolled: 1-line block ×3, first 2 shown]
	s_waitcnt lgkmcnt(0)
	v_cmp_lt_u64_e64 s2, s[6:7], 2
	s_delay_alu instid0(VALU_DEP_1)
	s_and_b32 vcc_lo, exec_lo, s2
	s_cbranch_vccnz .LBB0_8
; %bb.1:
	s_load_b64 s[2:3], s[0:1], 0x10
	v_mov_b32_e32 v1, 0
	s_add_u32 s12, s10, 8
	v_mov_b32_e32 v2, 0
	s_addc_u32 s13, s11, 0
	s_mov_b64 s[16:17], 1
	s_waitcnt lgkmcnt(0)
	s_add_u32 s14, s2, 8
	s_addc_u32 s15, s3, 0
.LBB0_2:                                ; =>This Inner Loop Header: Depth=1
	s_load_b64 s[18:19], s[14:15], 0x0
                                        ; implicit-def: $vgpr27_vgpr28
	s_mov_b32 s2, exec_lo
	s_waitcnt lgkmcnt(0)
	v_or_b32_e32 v4, s19, v6
	s_delay_alu instid0(VALU_DEP_1)
	v_cmpx_ne_u64_e32 0, v[3:4]
	s_xor_b32 s3, exec_lo, s2
	s_cbranch_execz .LBB0_4
; %bb.3:                                ;   in Loop: Header=BB0_2 Depth=1
	v_cvt_f32_u32_e32 v4, s18
	v_cvt_f32_u32_e32 v7, s19
	s_sub_u32 s2, 0, s18
	s_subb_u32 s20, 0, s19
	s_delay_alu instid0(VALU_DEP_1) | instskip(NEXT) | instid1(VALU_DEP_1)
	v_fmac_f32_e32 v4, 0x4f800000, v7
	v_rcp_f32_e32 v4, v4
	s_waitcnt_depctr 0xfff
	v_mul_f32_e32 v4, 0x5f7ffffc, v4
	s_delay_alu instid0(VALU_DEP_1) | instskip(NEXT) | instid1(VALU_DEP_1)
	v_mul_f32_e32 v7, 0x2f800000, v4
	v_trunc_f32_e32 v7, v7
	s_delay_alu instid0(VALU_DEP_1) | instskip(SKIP_1) | instid1(VALU_DEP_2)
	v_fmac_f32_e32 v4, 0xcf800000, v7
	v_cvt_u32_f32_e32 v7, v7
	v_cvt_u32_f32_e32 v4, v4
	s_delay_alu instid0(VALU_DEP_2) | instskip(NEXT) | instid1(VALU_DEP_2)
	v_mul_lo_u32 v8, s2, v7
	v_mul_hi_u32 v9, s2, v4
	v_mul_lo_u32 v10, s20, v4
	s_delay_alu instid0(VALU_DEP_2) | instskip(SKIP_1) | instid1(VALU_DEP_2)
	v_add_nc_u32_e32 v8, v9, v8
	v_mul_lo_u32 v9, s2, v4
	v_add_nc_u32_e32 v8, v8, v10
	s_delay_alu instid0(VALU_DEP_2) | instskip(NEXT) | instid1(VALU_DEP_2)
	v_mul_hi_u32 v10, v4, v9
	v_mul_lo_u32 v11, v4, v8
	v_mul_hi_u32 v12, v4, v8
	v_mul_hi_u32 v13, v7, v9
	v_mul_lo_u32 v9, v7, v9
	v_mul_hi_u32 v14, v7, v8
	v_mul_lo_u32 v8, v7, v8
	v_add_co_u32 v10, vcc_lo, v10, v11
	v_add_co_ci_u32_e32 v11, vcc_lo, 0, v12, vcc_lo
	s_delay_alu instid0(VALU_DEP_2) | instskip(NEXT) | instid1(VALU_DEP_2)
	v_add_co_u32 v9, vcc_lo, v10, v9
	v_add_co_ci_u32_e32 v9, vcc_lo, v11, v13, vcc_lo
	v_add_co_ci_u32_e32 v10, vcc_lo, 0, v14, vcc_lo
	s_delay_alu instid0(VALU_DEP_2) | instskip(NEXT) | instid1(VALU_DEP_2)
	v_add_co_u32 v8, vcc_lo, v9, v8
	v_add_co_ci_u32_e32 v9, vcc_lo, 0, v10, vcc_lo
	s_delay_alu instid0(VALU_DEP_2) | instskip(NEXT) | instid1(VALU_DEP_2)
	v_add_co_u32 v4, vcc_lo, v4, v8
	v_add_co_ci_u32_e32 v7, vcc_lo, v7, v9, vcc_lo
	s_delay_alu instid0(VALU_DEP_2) | instskip(SKIP_1) | instid1(VALU_DEP_3)
	v_mul_hi_u32 v8, s2, v4
	v_mul_lo_u32 v10, s20, v4
	v_mul_lo_u32 v9, s2, v7
	s_delay_alu instid0(VALU_DEP_1) | instskip(SKIP_1) | instid1(VALU_DEP_2)
	v_add_nc_u32_e32 v8, v8, v9
	v_mul_lo_u32 v9, s2, v4
	v_add_nc_u32_e32 v8, v8, v10
	s_delay_alu instid0(VALU_DEP_2) | instskip(NEXT) | instid1(VALU_DEP_2)
	v_mul_hi_u32 v10, v4, v9
	v_mul_lo_u32 v11, v4, v8
	v_mul_hi_u32 v12, v4, v8
	v_mul_hi_u32 v13, v7, v9
	v_mul_lo_u32 v9, v7, v9
	v_mul_hi_u32 v14, v7, v8
	v_mul_lo_u32 v8, v7, v8
	v_add_co_u32 v10, vcc_lo, v10, v11
	v_add_co_ci_u32_e32 v11, vcc_lo, 0, v12, vcc_lo
	s_delay_alu instid0(VALU_DEP_2) | instskip(NEXT) | instid1(VALU_DEP_2)
	v_add_co_u32 v9, vcc_lo, v10, v9
	v_add_co_ci_u32_e32 v9, vcc_lo, v11, v13, vcc_lo
	v_add_co_ci_u32_e32 v10, vcc_lo, 0, v14, vcc_lo
	s_delay_alu instid0(VALU_DEP_2) | instskip(NEXT) | instid1(VALU_DEP_2)
	v_add_co_u32 v8, vcc_lo, v9, v8
	v_add_co_ci_u32_e32 v9, vcc_lo, 0, v10, vcc_lo
	s_delay_alu instid0(VALU_DEP_2) | instskip(NEXT) | instid1(VALU_DEP_2)
	v_add_co_u32 v4, vcc_lo, v4, v8
	v_add_co_ci_u32_e32 v13, vcc_lo, v7, v9, vcc_lo
	s_delay_alu instid0(VALU_DEP_2) | instskip(SKIP_1) | instid1(VALU_DEP_3)
	v_mul_hi_u32 v14, v5, v4
	v_mad_u64_u32 v[9:10], null, v6, v4, 0
	v_mad_u64_u32 v[7:8], null, v5, v13, 0
	;; [unrolled: 1-line block ×3, first 2 shown]
	s_delay_alu instid0(VALU_DEP_2) | instskip(NEXT) | instid1(VALU_DEP_3)
	v_add_co_u32 v4, vcc_lo, v14, v7
	v_add_co_ci_u32_e32 v7, vcc_lo, 0, v8, vcc_lo
	s_delay_alu instid0(VALU_DEP_2) | instskip(NEXT) | instid1(VALU_DEP_2)
	v_add_co_u32 v4, vcc_lo, v4, v9
	v_add_co_ci_u32_e32 v4, vcc_lo, v7, v10, vcc_lo
	v_add_co_ci_u32_e32 v7, vcc_lo, 0, v12, vcc_lo
	s_delay_alu instid0(VALU_DEP_2) | instskip(NEXT) | instid1(VALU_DEP_2)
	v_add_co_u32 v4, vcc_lo, v4, v11
	v_add_co_ci_u32_e32 v9, vcc_lo, 0, v7, vcc_lo
	s_delay_alu instid0(VALU_DEP_2) | instskip(SKIP_1) | instid1(VALU_DEP_3)
	v_mul_lo_u32 v10, s19, v4
	v_mad_u64_u32 v[7:8], null, s18, v4, 0
	v_mul_lo_u32 v11, s18, v9
	s_delay_alu instid0(VALU_DEP_2) | instskip(NEXT) | instid1(VALU_DEP_2)
	v_sub_co_u32 v7, vcc_lo, v5, v7
	v_add3_u32 v8, v8, v11, v10
	s_delay_alu instid0(VALU_DEP_1) | instskip(NEXT) | instid1(VALU_DEP_1)
	v_sub_nc_u32_e32 v10, v6, v8
	v_subrev_co_ci_u32_e64 v10, s2, s19, v10, vcc_lo
	v_add_co_u32 v11, s2, v4, 2
	s_delay_alu instid0(VALU_DEP_1) | instskip(SKIP_3) | instid1(VALU_DEP_3)
	v_add_co_ci_u32_e64 v12, s2, 0, v9, s2
	v_sub_co_u32 v13, s2, v7, s18
	v_sub_co_ci_u32_e32 v8, vcc_lo, v6, v8, vcc_lo
	v_subrev_co_ci_u32_e64 v10, s2, 0, v10, s2
	v_cmp_le_u32_e32 vcc_lo, s18, v13
	s_delay_alu instid0(VALU_DEP_3) | instskip(SKIP_1) | instid1(VALU_DEP_4)
	v_cmp_eq_u32_e64 s2, s19, v8
	v_cndmask_b32_e64 v13, 0, -1, vcc_lo
	v_cmp_le_u32_e32 vcc_lo, s19, v10
	v_cndmask_b32_e64 v14, 0, -1, vcc_lo
	v_cmp_le_u32_e32 vcc_lo, s18, v7
	;; [unrolled: 2-line block ×3, first 2 shown]
	v_cndmask_b32_e64 v15, 0, -1, vcc_lo
	v_cmp_eq_u32_e32 vcc_lo, s19, v10
	s_delay_alu instid0(VALU_DEP_2) | instskip(SKIP_3) | instid1(VALU_DEP_3)
	v_cndmask_b32_e64 v7, v15, v7, s2
	v_cndmask_b32_e32 v10, v14, v13, vcc_lo
	v_add_co_u32 v13, vcc_lo, v4, 1
	v_add_co_ci_u32_e32 v14, vcc_lo, 0, v9, vcc_lo
	v_cmp_ne_u32_e32 vcc_lo, 0, v10
	s_delay_alu instid0(VALU_DEP_2) | instskip(NEXT) | instid1(VALU_DEP_4)
	v_cndmask_b32_e32 v8, v14, v12, vcc_lo
	v_cndmask_b32_e32 v10, v13, v11, vcc_lo
	v_cmp_ne_u32_e32 vcc_lo, 0, v7
	s_delay_alu instid0(VALU_DEP_2)
	v_dual_cndmask_b32 v27, v4, v10 :: v_dual_cndmask_b32 v28, v9, v8
.LBB0_4:                                ;   in Loop: Header=BB0_2 Depth=1
	s_and_not1_saveexec_b32 s2, s3
	s_cbranch_execz .LBB0_6
; %bb.5:                                ;   in Loop: Header=BB0_2 Depth=1
	v_cvt_f32_u32_e32 v4, s18
	s_sub_i32 s3, 0, s18
	v_mov_b32_e32 v28, v3
	s_delay_alu instid0(VALU_DEP_2) | instskip(SKIP_2) | instid1(VALU_DEP_1)
	v_rcp_iflag_f32_e32 v4, v4
	s_waitcnt_depctr 0xfff
	v_mul_f32_e32 v4, 0x4f7ffffe, v4
	v_cvt_u32_f32_e32 v4, v4
	s_delay_alu instid0(VALU_DEP_1) | instskip(NEXT) | instid1(VALU_DEP_1)
	v_mul_lo_u32 v7, s3, v4
	v_mul_hi_u32 v7, v4, v7
	s_delay_alu instid0(VALU_DEP_1) | instskip(NEXT) | instid1(VALU_DEP_1)
	v_add_nc_u32_e32 v4, v4, v7
	v_mul_hi_u32 v4, v5, v4
	s_delay_alu instid0(VALU_DEP_1) | instskip(SKIP_1) | instid1(VALU_DEP_2)
	v_mul_lo_u32 v7, v4, s18
	v_add_nc_u32_e32 v8, 1, v4
	v_sub_nc_u32_e32 v7, v5, v7
	s_delay_alu instid0(VALU_DEP_1) | instskip(SKIP_1) | instid1(VALU_DEP_2)
	v_subrev_nc_u32_e32 v9, s18, v7
	v_cmp_le_u32_e32 vcc_lo, s18, v7
	v_dual_cndmask_b32 v7, v7, v9 :: v_dual_cndmask_b32 v4, v4, v8
	s_delay_alu instid0(VALU_DEP_1) | instskip(NEXT) | instid1(VALU_DEP_2)
	v_cmp_le_u32_e32 vcc_lo, s18, v7
	v_add_nc_u32_e32 v8, 1, v4
	s_delay_alu instid0(VALU_DEP_1)
	v_cndmask_b32_e32 v27, v4, v8, vcc_lo
.LBB0_6:                                ;   in Loop: Header=BB0_2 Depth=1
	s_or_b32 exec_lo, exec_lo, s2
	s_load_b64 s[2:3], s[12:13], 0x0
	v_mul_lo_u32 v4, v28, s18
	s_delay_alu instid0(VALU_DEP_2)
	v_mul_lo_u32 v9, v27, s19
	v_mad_u64_u32 v[7:8], null, v27, s18, 0
	s_add_u32 s16, s16, 1
	s_addc_u32 s17, s17, 0
	s_add_u32 s12, s12, 8
	s_addc_u32 s13, s13, 0
	;; [unrolled: 2-line block ×3, first 2 shown]
	s_delay_alu instid0(VALU_DEP_1) | instskip(SKIP_1) | instid1(VALU_DEP_2)
	v_add3_u32 v4, v8, v9, v4
	v_sub_co_u32 v7, vcc_lo, v5, v7
	v_sub_co_ci_u32_e32 v4, vcc_lo, v6, v4, vcc_lo
	s_waitcnt lgkmcnt(0)
	s_delay_alu instid0(VALU_DEP_2) | instskip(NEXT) | instid1(VALU_DEP_2)
	v_mul_lo_u32 v8, s3, v7
	v_mul_lo_u32 v6, s2, v4
	v_mad_u64_u32 v[4:5], null, s2, v7, v[1:2]
	v_cmp_ge_u64_e64 s2, s[16:17], s[6:7]
	s_delay_alu instid0(VALU_DEP_1) | instskip(NEXT) | instid1(VALU_DEP_2)
	s_and_b32 vcc_lo, exec_lo, s2
	v_add3_u32 v2, v8, v5, v6
	s_delay_alu instid0(VALU_DEP_3)
	v_mov_b32_e32 v1, v4
	s_cbranch_vccnz .LBB0_9
; %bb.7:                                ;   in Loop: Header=BB0_2 Depth=1
	v_dual_mov_b32 v5, v27 :: v_dual_mov_b32 v6, v28
	s_branch .LBB0_2
.LBB0_8:
	v_dual_mov_b32 v28, v6 :: v_dual_mov_b32 v27, v5
.LBB0_9:
	s_lshl_b64 s[2:3], s[6:7], 3
	s_load_b64 s[0:1], s[0:1], 0x20
	s_add_u32 s2, s10, s2
	s_addc_u32 s3, s11, s3
	v_mul_hi_u32 v9, 0x4ec4ec5, v0
	s_load_b64 s[2:3], s[2:3], 0x0
	v_mov_b32_e32 v3, 0
	v_mov_b32_e32 v4, 0
                                        ; implicit-def: $vgpr47
                                        ; implicit-def: $vgpr43
                                        ; implicit-def: $vgpr39
                                        ; implicit-def: $vgpr33
                                        ; implicit-def: $vgpr35
                                        ; implicit-def: $vgpr53
                                        ; implicit-def: $vgpr51
                                        ; implicit-def: $vgpr37
                                        ; implicit-def: $vgpr49
                                        ; implicit-def: $vgpr41
                                        ; implicit-def: $vgpr55
                                        ; implicit-def: $vgpr45
	s_delay_alu instid0(VALU_DEP_1)
	v_dual_mov_b32 v8, v4 :: v_dual_mov_b32 v7, v3
	v_dual_mov_b32 v6, v4 :: v_dual_mov_b32 v5, v3
	;; [unrolled: 1-line block ×5, first 2 shown]
	s_waitcnt lgkmcnt(0)
	v_cmp_gt_u64_e32 vcc_lo, s[0:1], v[27:28]
	v_dual_mov_b32 v14, v4 :: v_dual_mov_b32 v13, v3
	v_mul_lo_u32 v15, s2, v28
	v_mul_lo_u32 v16, s3, v27
	v_mad_u64_u32 v[29:30], null, s2, v27, v[1:2]
	v_mul_u32_u24_e32 v1, 52, v9
	v_dual_mov_b32 v10, v4 :: v_dual_mov_b32 v9, v3
	v_dual_mov_b32 v22, v4 :: v_dual_mov_b32 v21, v3
	s_delay_alu instid0(VALU_DEP_3) | instskip(SKIP_3) | instid1(VALU_DEP_3)
	v_sub_nc_u32_e32 v24, v0, v1
	v_add3_u32 v30, v16, v30, v15
	v_dual_mov_b32 v16, v4 :: v_dual_mov_b32 v15, v3
	v_dual_mov_b32 v0, v3 :: v_dual_mov_b32 v1, v4
	v_lshlrev_b64 v[28:29], 3, v[29:30]
	v_or_b32_e32 v26, 0x340, v24
	v_dual_mov_b32 v31, v4 :: v_dual_mov_b32 v30, v3
	s_and_saveexec_b32 s1, vcc_lo
	s_cbranch_execz .LBB0_11
; %bb.10:
	v_mov_b32_e32 v25, 0
	v_add_co_u32 v2, s0, s8, v28
	s_delay_alu instid0(VALU_DEP_1) | instskip(NEXT) | instid1(VALU_DEP_3)
	v_add_co_ci_u32_e64 v13, s0, s9, v29, s0
	v_lshlrev_b64 v[0:1], 3, v[24:25]
	v_mov_b32_e32 v27, v25
	s_delay_alu instid0(VALU_DEP_1) | instskip(NEXT) | instid1(VALU_DEP_3)
	v_lshlrev_b64 v[11:12], 3, v[26:27]
	v_add_co_u32 v0, s0, v2, v0
	s_delay_alu instid0(VALU_DEP_1) | instskip(NEXT) | instid1(VALU_DEP_2)
	v_add_co_ci_u32_e64 v1, s0, v13, v1, s0
	v_add_co_u32 v36, s0, 0x1000, v0
	s_delay_alu instid0(VALU_DEP_1) | instskip(SKIP_1) | instid1(VALU_DEP_1)
	v_add_co_ci_u32_e64 v37, s0, 0, v1, s0
	v_add_co_u32 v15, s0, v2, v11
	v_add_co_ci_u32_e64 v16, s0, v13, v12, s0
	v_add_co_u32 v56, s0, 0x2000, v0
	s_delay_alu instid0(VALU_DEP_1)
	v_add_co_ci_u32_e64 v57, s0, 0, v1, s0
	s_clause 0x17
	global_load_b64 v[3:4], v[0:1], off
	global_load_b64 v[7:8], v[0:1], off offset:416
	global_load_b64 v[5:6], v[0:1], off offset:832
	;; [unrolled: 1-line block ×13, first 2 shown]
	global_load_b64 v[54:55], v[15:16], off
	global_load_b64 v[34:35], v[36:37], off offset:3808
	global_load_b64 v[21:22], v[0:1], off offset:3328
	;; [unrolled: 1-line block ×9, first 2 shown]
.LBB0_11:
	s_or_b32 exec_lo, exec_lo, s1
	s_waitcnt vmcnt(19)
	v_sub_f32_e32 v57, v3, v46
	s_waitcnt vmcnt(18)
	v_sub_f32_e32 v59, v7, v42
	s_waitcnt vmcnt(17)
	v_dual_sub_f32 v39, v6, v39 :: v_dual_add_nc_u32 v88, 0x68, v24
	s_waitcnt vmcnt(9)
	v_dual_sub_f32 v55, v18, v55 :: v_dual_add_nc_u32 v82, 0x23c, v24
	v_fma_f32 v56, v3, 2.0, -v57
	v_dual_sub_f32 v3, v5, v38 :: v_dual_add_nc_u32 v90, 52, v24
	v_sub_f32_e32 v61, v11, v32
	v_fma_f32 v58, v7, 2.0, -v59
	v_sub_f32_e32 v41, v20, v41
	v_lshl_add_u32 v27, v24, 2, 0
	v_sub_f32_e32 v7, v9, v44
	v_dual_sub_f32 v45, v10, v45 :: v_dual_add_nc_u32 v84, 0x104, v24
	v_fma_f32 v60, v11, 2.0, -v61
	s_waitcnt vmcnt(8)
	v_sub_f32_e32 v11, v13, v34
	v_sub_f32_e32 v47, v4, v47
	;; [unrolled: 1-line block ×3, first 2 shown]
	v_fma_f32 v2, v5, 2.0, -v3
	v_fma_f32 v38, v6, 2.0, -v39
	;; [unrolled: 1-line block ×3, first 2 shown]
	v_dual_sub_f32 v5, v17, v54 :: v_dual_add_nc_u32 v86, 0x16c, v24
	v_dual_sub_f32 v9, v19, v40 :: v_dual_add_nc_u32 v72, 0xc00, v27
	v_fma_f32 v54, v18, 2.0, -v55
	v_fma_f32 v40, v20, 2.0, -v41
	v_sub_f32_e32 v18, v12, v33
	v_dual_sub_f32 v20, v14, v35 :: v_dual_add_nc_u32 v89, 0x9c, v24
	s_waitcnt vmcnt(1)
	v_dual_sub_f32 v33, v21, v52 :: v_dual_sub_f32 v52, v31, v49
	v_add_nc_u32_e32 v87, 0xd0, v24
	v_add_nc_u32_e32 v81, 0x208, v24
	v_sub_f32_e32 v35, v16, v51
	v_fma_f32 v44, v10, 2.0, -v45
	v_fma_f32 v10, v13, 2.0, -v11
	v_add_nc_u32_e32 v85, 0x138, v24
	v_dual_sub_f32 v13, v15, v50 :: v_dual_sub_f32 v50, v30, v48
	v_fma_f32 v46, v4, 2.0, -v47
	v_fma_f32 v4, v17, 2.0, -v5
	v_sub_f32_e32 v23, v22, v53
	v_fma_f32 v34, v16, 2.0, -v35
	v_fma_f32 v51, v31, 2.0, -v52
	v_lshl_add_u32 v16, v24, 3, 0
	v_lshl_add_u32 v53, v87, 3, 0
	v_add_nc_u32_e32 v31, 0x1a0, v24
	v_fma_f32 v42, v8, 2.0, -v43
	v_fma_f32 v8, v19, 2.0, -v9
	;; [unrolled: 1-line block ×3, first 2 shown]
	v_lshl_add_u32 v21, v90, 3, 0
	v_lshl_add_u32 v62, v84, 3, 0
	v_add_nc_u32_e32 v83, 0x1d4, v24
	v_fma_f32 v49, v30, 2.0, -v50
	v_lshl_add_u32 v30, v88, 3, 0
	v_lshl_add_u32 v63, v85, 3, 0
	v_fma_f32 v17, v12, 2.0, -v18
	v_fma_f32 v12, v15, 2.0, -v13
	s_waitcnt vmcnt(0)
	v_sub_f32_e32 v15, v0, v36
	v_lshl_add_u32 v48, v89, 3, 0
	v_lshl_add_u32 v64, v86, 3, 0
	ds_store_b64 v16, v[56:57]
	ds_store_b64 v21, v[58:59]
	;; [unrolled: 1-line block ×8, first 2 shown]
	v_lshl_add_u32 v60, v31, 3, 0
	v_lshl_add_u32 v61, v83, 3, 0
	;; [unrolled: 1-line block ×3, first 2 shown]
	v_fma_f32 v19, v14, 2.0, -v20
	v_fma_f32 v14, v0, 2.0, -v15
	v_lshl_add_u32 v66, v82, 3, 0
	ds_store_b64 v60, v[32:33]
	ds_store_b64 v61, v[12:13]
	;; [unrolled: 1-line block ×4, first 2 shown]
	v_add_nc_u32_e32 v14, 0xa00, v27
	v_add_nc_u32_e32 v25, 0x800, v27
	;; [unrolled: 1-line block ×3, first 2 shown]
	s_waitcnt lgkmcnt(0)
	s_barrier
	buffer_gl0_inv
	ds_load_2addr_b32 v[56:57], v27 offset1:52
	ds_load_2addr_b32 v[4:5], v25 offset0:112 offset1:164
	ds_load_2addr_b32 v[58:59], v27 offset0:104 offset1:156
	;; [unrolled: 1-line block ×4, first 2 shown]
	v_sub_f32_e32 v37, v1, v37
	v_add_nc_u32_e32 v73, 0x400, v27
	v_add_nc_u32_e32 v49, 0x1000, v27
	v_lshlrev_b32_e32 v32, 1, v90
	v_add_nc_u32_e32 v91, 0xe00, v27
	v_fma_f32 v36, v1, 2.0, -v37
	ds_load_2addr_b32 v[8:9], v72 offset0:64 offset1:116
	ds_load_2addr_b32 v[99:100], v73 offset0:56 offset1:108
	ds_load_2addr_b32 v[6:7], v72 offset0:168 offset1:220
	ds_load_2addr_b32 v[101:102], v73 offset0:160 offset1:212
	ds_load_2addr_b32 v[2:3], v49 offset0:16 offset1:68
	ds_load_2addr_b32 v[103:104], v25 offset0:8 offset1:60
	ds_load_2addr_b32 v[0:1], v49 offset0:120 offset1:172
	s_waitcnt lgkmcnt(0)
	s_barrier
	buffer_gl0_inv
	ds_store_b64 v16, v[46:47]
	ds_store_b64 v21, v[42:43]
	;; [unrolled: 1-line block ×4, first 2 shown]
	v_and_b32_e32 v39, 1, v24
	v_lshlrev_b32_e32 v46, 1, v81
	v_lshlrev_b32_e32 v42, 1, v85
	;; [unrolled: 1-line block ×5, first 2 shown]
	ds_store_b64 v53, v[54:55]
	ds_store_b64 v62, v[40:41]
	;; [unrolled: 1-line block ×4, first 2 shown]
	v_lshlrev_b32_e32 v40, 1, v87
	v_fma_f32 v22, v22, 2.0, -v23
	ds_store_b64 v60, v[22:23]
	ds_store_b64 v61, v[34:35]
	;; [unrolled: 1-line block ×4, first 2 shown]
	s_waitcnt lgkmcnt(0)
	s_barrier
	buffer_gl0_inv
	global_load_b64 v[12:13], v12, s[4:5]
	ds_load_2addr_b32 v[33:34], v27 offset1:52
	ds_load_2addr_b32 v[67:68], v25 offset0:112 offset1:164
	ds_load_2addr_b32 v[20:21], v27 offset0:104 offset1:156
	;; [unrolled: 1-line block ×11, first 2 shown]
	v_and_or_b32 v42, 0x2fc, v42, v39
	v_lshlrev_b32_e32 v36, 1, v89
	v_lshlrev_b32_e32 v35, 1, v88
	;; [unrolled: 1-line block ×3, first 2 shown]
	s_waitcnt vmcnt(0) lgkmcnt(0)
	v_lshl_add_u32 v80, v42, 2, 0
	s_barrier
	buffer_gl0_inv
	v_cmp_gt_u32_e64 s0, 44, v24
                                        ; implicit-def: $vgpr113
	v_mul_f32_e32 v42, v63, v13
	s_delay_alu instid0(VALU_DEP_1) | instskip(NEXT) | instid1(VALU_DEP_1)
	v_fmac_f32_e32 v42, v8, v12
	v_sub_f32_e32 v42, v97, v42
	v_and_or_b32 v36, 0x1fc, v36, v39
	v_and_or_b32 v40, 0x3fc, v40, v39
	;; [unrolled: 1-line block ×5, first 2 shown]
	v_lshl_add_u32 v77, v36, 2, 0
	v_lshl_add_u32 v78, v40, 2, 0
	v_mul_f32_e32 v36, v68, v13
	v_mul_f32_e32 v40, v70, v13
	v_lshl_add_u32 v95, v46, 2, 0
	v_dual_mul_f32 v46, v65, v13 :: v_dual_lshlrev_b32 v43, 1, v86
	s_delay_alu instid0(VALU_DEP_4) | instskip(NEXT) | instid1(VALU_DEP_4)
	v_dual_fmac_f32 v36, v5, v12 :: v_dual_lshlrev_b32 v45, 1, v83
	v_dual_fmac_f32 v40, v11, v12 :: v_dual_lshlrev_b32 v47, 1, v82
	v_lshl_add_u32 v74, v48, 2, 0
	v_and_or_b32 v48, 0xfc, v32, v39
	v_and_or_b32 v41, 0x2fc, v41, v39
	s_delay_alu instid0(VALU_DEP_4)
	v_sub_f32_e32 v40, v59, v40
	v_and_or_b32 v44, 0x3fc, v44, v39
	v_fmac_f32_e32 v46, v6, v12
	v_and_or_b32 v43, 0x3fc, v43, v39
	v_sub_f32_e32 v52, v57, v36
	v_and_or_b32 v45, 0x7fc, v45, v39
	v_and_or_b32 v39, 0x4fc, v47, v39
	v_lshl_add_u32 v76, v35, 2, 0
	v_mul_f32_e32 v35, v67, v13
	v_lshl_add_u32 v93, v44, 2, 0
	v_mul_f32_e32 v44, v64, v13
	;; [unrolled: 2-line block ×3, first 2 shown]
	v_lshl_add_u32 v75, v48, 2, 0
	v_lshl_add_u32 v79, v41, 2, 0
	;; [unrolled: 1-line block ×4, first 2 shown]
	v_mul_f32_e32 v47, v66, v13
	v_mul_f32_e32 v41, v62, v13
	;; [unrolled: 1-line block ×5, first 2 shown]
	v_fmac_f32_e32 v35, v4, v12
	v_fmac_f32_e32 v39, v10, v12
	;; [unrolled: 1-line block ×8, first 2 shown]
	v_sub_f32_e32 v51, v56, v35
	v_sub_f32_e32 v39, v58, v39
	;; [unrolled: 1-line block ×9, first 2 shown]
	v_fma_f32 v54, v56, 2.0, -v51
	v_fma_f32 v55, v57, 2.0, -v52
	;; [unrolled: 1-line block ×12, first 2 shown]
	ds_store_2addr_b32 v74, v54, v51 offset1:2
	ds_store_2addr_b32 v75, v55, v52 offset1:2
	;; [unrolled: 1-line block ×12, first 2 shown]
	s_waitcnt lgkmcnt(0)
	s_barrier
	buffer_gl0_inv
	ds_load_2addr_b32 v[39:40], v27 offset1:96
	ds_load_2addr_b32 v[59:60], v71 offset0:64 offset1:160
	ds_load_2addr_b32 v[57:58], v73 offset0:128 offset1:224
	ds_load_b32 v111, v27 offset:4608
	ds_load_2addr_b32 v[55:56], v25 offset0:64 offset1:160
	ds_load_2addr_b32 v[53:54], v72 offset1:96
	ds_load_2addr_b32 v[51:52], v91 offset0:64 offset1:160
	s_and_saveexec_b32 s1, s0
	s_cbranch_execz .LBB0_13
; %bb.12:
	v_add_nc_u32_e32 v41, 0x600, v27
	ds_load_2addr_b32 v[35:36], v27 offset0:52 offset1:148
	ds_load_2addr_b32 v[47:48], v71 offset0:116 offset1:212
	;; [unrolled: 1-line block ×6, first 2 shown]
	ds_load_b32 v113, v27 offset:4816
.LBB0_13:
	s_or_b32 exec_lo, exec_lo, s1
	v_mul_f32_e32 v3, v3, v13
	v_mul_f32_e32 v11, v11, v13
	;; [unrolled: 1-line block ×5, first 2 shown]
	v_fma_f32 v3, v38, v12, -v3
	v_mul_f32_e32 v2, v2, v13
	v_fma_f32 v11, v70, v12, -v11
	v_mul_f32_e32 v4, v4, v13
	;; [unrolled: 2-line block ×3, first 2 shown]
	v_fma_f32 v2, v37, v12, -v2
	v_dual_mul_f32 v6, v6, v13 :: v_dual_sub_f32 v11, v21, v11
	v_fma_f32 v4, v67, v12, -v4
	s_delay_alu instid0(VALU_DEP_4) | instskip(NEXT) | instid1(VALU_DEP_4)
	v_fma_f32 v10, v69, v12, -v10
	v_sub_f32_e32 v67, v16, v2
	s_delay_alu instid0(VALU_DEP_4) | instskip(SKIP_1) | instid1(VALU_DEP_4)
	v_fma_f32 v6, v65, v12, -v6
	v_mul_f32_e32 v8, v8, v13
	v_dual_mul_f32 v5, v5, v13 :: v_dual_sub_f32 v10, v20, v10
	v_sub_f32_e32 v4, v33, v4
	v_fma_f32 v0, v61, v12, -v0
	s_delay_alu instid0(VALU_DEP_4) | instskip(SKIP_3) | instid1(VALU_DEP_4)
	v_fma_f32 v8, v63, v12, -v8
	v_mul_f32_e32 v9, v9, v13
	v_fma_f32 v5, v68, v12, -v5
	v_fma_f32 v1, v62, v12, -v1
	v_dual_sub_f32 v69, v15, v7 :: v_dual_sub_f32 v8, v22, v8
	s_delay_alu instid0(VALU_DEP_4) | instskip(NEXT) | instid1(VALU_DEP_4)
	v_fma_f32 v9, v64, v12, -v9
	v_sub_f32_e32 v5, v34, v5
	v_fma_f32 v12, v33, 2.0, -v4
	v_sub_f32_e32 v33, v14, v6
	v_sub_f32_e32 v65, v17, v3
	;; [unrolled: 1-line block ×5, first 2 shown]
	v_fma_f32 v13, v34, 2.0, -v5
	v_fma_f32 v6, v20, 2.0, -v10
	;; [unrolled: 1-line block ×11, first 2 shown]
	s_waitcnt lgkmcnt(0)
	s_barrier
	buffer_gl0_inv
	ds_store_2addr_b32 v74, v12, v4 offset1:2
	ds_store_2addr_b32 v75, v13, v5 offset1:2
	;; [unrolled: 1-line block ×12, first 2 shown]
	s_waitcnt lgkmcnt(0)
	s_barrier
	buffer_gl0_inv
	ds_load_2addr_b32 v[37:38], v27 offset1:96
	ds_load_2addr_b32 v[79:80], v71 offset0:64 offset1:160
	ds_load_2addr_b32 v[77:78], v73 offset0:128 offset1:224
	;; [unrolled: 1-line block ×3, first 2 shown]
	ds_load_2addr_b32 v[73:74], v72 offset1:96
	ds_load_2addr_b32 v[71:72], v91 offset0:64 offset1:160
	ds_load_b32 v118, v27 offset:4608
                                        ; implicit-def: $vgpr119
	s_and_saveexec_b32 s1, s0
	s_cbranch_execz .LBB0_15
; %bb.14:
	v_add_nc_u32_e32 v0, 0x200, v27
	v_add_nc_u32_e32 v1, 0x600, v27
	;; [unrolled: 1-line block ×5, first 2 shown]
	ds_load_2addr_b32 v[33:34], v27 offset0:52 offset1:148
	ds_load_2addr_b32 v[69:70], v0 offset0:116 offset1:212
	;; [unrolled: 1-line block ×6, first 2 shown]
	ds_load_b32 v119, v27 offset:4816
.LBB0_15:
	s_or_b32 exec_lo, exec_lo, s1
	v_and_b32_e32 v25, 3, v24
	v_lshrrev_b32_e32 v91, 2, v24
	v_lshrrev_b32_e32 v90, 2, v90
	s_delay_alu instid0(VALU_DEP_3) | instskip(NEXT) | instid1(VALU_DEP_3)
	v_mul_u32_u24_e32 v0, 12, v25
	v_mul_u32_u24_e32 v91, 52, v91
	s_delay_alu instid0(VALU_DEP_2)
	v_lshlrev_b32_e32 v16, 3, v0
	s_clause 0x5
	global_load_b128 v[12:15], v16, s[4:5] offset:16
	global_load_b128 v[8:11], v16, s[4:5] offset:32
	;; [unrolled: 1-line block ×6, first 2 shown]
	s_waitcnt vmcnt(0) lgkmcnt(0)
	s_barrier
	buffer_gl0_inv
	v_dual_mul_f32 v121, v59, v15 :: v_dual_mul_f32 v116, v38, v13
	v_or_b32_e32 v91, v91, v25
	v_dual_mul_f32 v120, v40, v13 :: v_dual_mul_f32 v123, v57, v11
	v_dual_mul_f32 v110, v80, v9 :: v_dual_mul_f32 v125, v55, v7
	;; [unrolled: 1-line block ×6, first 2 shown]
	v_lshl_add_u32 v101, v91, 2, 0
	v_dual_mul_f32 v114, v79, v15 :: v_dual_mul_f32 v105, v76, v1
	v_dual_mul_f32 v122, v60, v9 :: v_dual_mul_f32 v107, v73, v3
	;; [unrolled: 1-line block ×14, first 2 shown]
	v_fma_f32 v13, v77, v10, -v123
	v_fma_f32 v9, v78, v4, -v124
	;; [unrolled: 1-line block ×6, first 2 shown]
	v_dual_mul_f32 v100, v62, v17 :: v_dual_mul_f32 v143, v113, v19
	v_dual_mul_f32 v142, v42, v17 :: v_dual_fmac_f32 v107, v53, v2
	v_dual_fmac_f32 v114, v59, v14 :: v_dual_fmac_f32 v109, v54, v20
	v_fma_f32 v17, v80, v8, -v122
	v_dual_fmac_f32 v108, v57, v10 :: v_dual_fmac_f32 v115, v52, v16
	v_fma_f32 v19, v71, v22, -v129
	;; [unrolled: 2-line block ×3, first 2 shown]
	v_sub_f32_e32 v34, v9, v11
	v_fmac_f32_e32 v96, v44, v20
	v_fma_f32 v44, v64, v20, -v140
	v_sub_f32_e32 v36, v5, v7
	v_sub_f32_e32 v20, v13, v15
	v_dual_mul_f32 v98, v61, v23 :: v_dual_fmac_f32 v105, v56, v0
	v_fma_f32 v59, v79, v14, -v121
	v_dual_fmac_f32 v116, v40, v12 :: v_dual_fmac_f32 v95, v49, v10
	v_fma_f32 v38, v38, v12, -v120
	v_dual_fmac_f32 v112, v51, v22 :: v_dual_fmac_f32 v93, v50, v4
	v_fma_f32 v23, v72, v16, -v130
	v_fma_f32 v21, v118, v18, -v131
	;; [unrolled: 1-line block ×4, first 2 shown]
	v_mul_f32_e32 v75, 0xbe750f2a, v36
	v_mul_f32_e32 v69, 0x3e750f2a, v20
	v_dual_fmac_f32 v100, v42, v16 :: v_dual_mul_f32 v73, 0x3e750f2a, v34
	v_sub_f32_e32 v16, v17, v19
	v_dual_mul_f32 v138, v46, v1 :: v_dual_mul_f32 v139, v43, v3
	v_dual_fmac_f32 v110, v60, v8 :: v_dual_fmac_f32 v117, v111, v18
	v_dual_fmac_f32 v104, v55, v6 :: v_dual_fmac_f32 v97, v48, v8
	v_fma_f32 v48, v70, v8, -v134
	v_fma_f32 v1, v65, v6, -v137
	;; [unrolled: 1-line block ×3, first 2 shown]
	v_dual_mul_f32 v65, 0xbf6f5d39, v20 :: v_dual_sub_f32 v12, v59, v23
	v_dual_mul_f32 v61, 0xbe750f2a, v16 :: v_dual_sub_f32 v8, v38, v21
	v_dual_fmac_f32 v106, v58, v4 :: v_dual_fmac_f32 v99, v47, v14
	s_delay_alu instid0(VALU_DEP_3) | instskip(NEXT) | instid1(VALU_DEP_3)
	v_dual_mul_f32 v55, 0xbf6f5d39, v12 :: v_dual_fmac_f32 v94, v43, v2
	v_dual_fmac_f32 v98, v41, v22 :: v_dual_mul_f32 v43, 0xbf7e222b, v8
	v_dual_add_f32 v6, v116, v117 :: v_dual_mul_f32 v53, 0xbf29c268, v8
	v_fma_f32 v47, v67, v10, -v135
	v_dual_fmac_f32 v92, v46, v0 :: v_dual_fmac_f32 v103, v113, v18
	v_fma_f32 v46, v119, v18, -v143
	v_add_f32_e32 v18, v108, v109
	v_dual_add_f32 v22, v106, v107 :: v_dual_mul_f32 v67, 0x3eedf032, v20
	v_mul_f32_e32 v41, 0xbeedf032, v8
	v_fmamk_f32 v113, v6, 0x3df6dbef, v43
	v_mul_f32_e32 v50, 0xbf6f5d39, v8
	v_fma_f32 v2, v63, v2, -v139
	v_dual_add_f32 v10, v114, v115 :: v_dual_mul_f32 v57, 0x3f29c268, v12
	v_mul_f32_e32 v63, 0x3eedf032, v16
	v_fmamk_f32 v80, v6, 0x3f62ad3f, v41
	v_fma_f32 v41, 0x3f62ad3f, v6, -v41
	v_fmamk_f32 v118, v6, 0xbeb58ec6, v50
	v_fma_f32 v50, 0xbeb58ec6, v6, -v50
	;; [unrolled: 2-line block ×3, first 2 shown]
	v_mul_f32_e32 v72, 0xbf52af12, v34
	v_fma_f32 v3, v68, v4, -v136
	v_dual_add_f32 v40, v104, v105 :: v_dual_mul_f32 v77, 0xbf29c268, v36
	v_dual_mul_f32 v42, 0xbf52af12, v8 :: v_dual_add_f32 v41, v39, v41
	v_dual_add_f32 v4, v39, v116 :: v_dual_fmamk_f32 v123, v10, 0xbf3f9e67, v57
	v_fma_f32 v57, 0xbf3f9e67, v10, -v57
	v_fmamk_f32 v134, v18, 0xbf788fa5, v69
	v_fma_f32 v69, 0xbf788fa5, v18, -v69
	v_mul_f32_e32 v76, 0x3eedf032, v36
	v_add_f32_e32 v14, v110, v112
	v_dual_fmamk_f32 v137, v22, 0x3f116cb1, v72 :: v_dual_add_f32 v50, v39, v50
	v_dual_fmamk_f32 v111, v6, 0x3f116cb1, v42 :: v_dual_add_f32 v4, v4, v114
	v_fmamk_f32 v119, v6, 0xbf3f9e67, v53
	s_delay_alu instid0(VALU_DEP_4)
	v_dual_fmamk_f32 v141, v40, 0x3f62ad3f, v76 :: v_dual_fmamk_f32 v128, v14, 0x3f62ad3f, v63
	v_fma_f32 v63, 0x3f62ad3f, v14, -v63
	v_add_f32_e32 v50, v57, v50
	v_mul_f32_e32 v68, 0xbf7e222b, v20
	v_mul_f32_e32 v54, 0xbf52af12, v12
	v_fma_f32 v43, 0x3df6dbef, v6, -v43
	v_mul_f32_e32 v8, 0xbe750f2a, v8
	v_dual_fmamk_f32 v121, v10, 0xbeb58ec6, v55 :: v_dual_add_f32 v4, v4, v110
	v_fmamk_f32 v133, v18, 0x3df6dbef, v68
	v_fma_f32 v68, 0x3df6dbef, v18, -v68
	v_mul_f32_e32 v74, 0x3eedf032, v34
	v_fma_f32 v42, 0x3f116cb1, v6, -v42
	v_fma_f32 v53, 0xbf3f9e67, v6, -v53
	v_dual_mul_f32 v56, 0xbe750f2a, v12 :: v_dual_add_f32 v43, v39, v43
	v_fmamk_f32 v120, v6, 0xbf788fa5, v8
	v_fma_f32 v6, 0xbf788fa5, v6, -v8
	s_delay_alu instid0(VALU_DEP_4)
	v_dual_add_f32 v53, v39, v53 :: v_dual_fmamk_f32 v8, v10, 0x3f116cb1, v54
	v_fma_f32 v54, 0x3f116cb1, v10, -v54
	v_mul_f32_e32 v58, 0x3f7e222b, v12
	v_dual_fmamk_f32 v139, v22, 0x3f62ad3f, v74 :: v_dual_add_f32 v4, v4, v108
	v_fmamk_f32 v122, v10, 0xbf788fa5, v56
	v_fma_f32 v56, 0xbf788fa5, v10, -v56
	s_delay_alu instid0(VALU_DEP_4)
	v_fmamk_f32 v124, v10, 0x3df6dbef, v58
	v_mul_f32_e32 v62, 0x3f6f5d39, v16
	v_fma_f32 v58, 0x3df6dbef, v10, -v58
	v_mul_f32_e32 v64, 0xbf52af12, v16
	v_add_f32_e32 v4, v4, v106
	v_fma_f32 v0, v66, v0, -v138
	v_dual_mul_f32 v60, 0xbf7e222b, v16 :: v_dual_add_f32 v43, v56, v43
	v_mul_f32_e32 v70, 0xbf29c268, v34
	v_mul_f32_e32 v71, 0x3f7e222b, v34
	v_dual_mul_f32 v34, 0xbf6f5d39, v34 :: v_dual_mul_f32 v79, 0xbf6f5d39, v36
	v_fma_f32 v55, 0xbeb58ec6, v10, -v55
	v_fmamk_f32 v126, v14, 0xbf788fa5, v61
	v_fma_f32 v61, 0xbf788fa5, v14, -v61
	v_mul_f32_e32 v16, 0xbf29c268, v16
	v_dual_fmamk_f32 v127, v14, 0xbeb58ec6, v62 :: v_dual_fmamk_f32 v144, v40, 0xbeb58ec6, v79
	v_fma_f32 v62, 0xbeb58ec6, v14, -v62
	v_mul_f32_e32 v66, 0x3f29c268, v20
	v_fmamk_f32 v138, v22, 0xbf788fa5, v73
	v_fma_f32 v73, 0xbf788fa5, v22, -v73
	v_mul_f32_e32 v78, 0x3f52af12, v36
	v_fma_f32 v74, 0x3f62ad3f, v22, -v74
	v_mul_f32_e32 v36, 0x3f7e222b, v36
	v_add_f32_e32 v42, v39, v42
	v_dual_mul_f32 v12, 0x3eedf032, v12 :: v_dual_add_f32 v53, v58, v53
	v_fmamk_f32 v129, v14, 0x3f116cb1, v64
	v_fma_f32 v64, 0x3f116cb1, v14, -v64
	v_mul_f32_e32 v20, 0x3f52af12, v20
	s_delay_alu instid0(VALU_DEP_4)
	v_dual_add_f32 v4, v4, v104 :: v_dual_fmamk_f32 v125, v10, 0x3f62ad3f, v12
	v_fma_f32 v10, 0x3f62ad3f, v10, -v12
	v_fmamk_f32 v12, v14, 0x3df6dbef, v60
	v_fma_f32 v60, 0x3df6dbef, v14, -v60
	v_fmamk_f32 v130, v14, 0xbf3f9e67, v16
	;; [unrolled: 2-line block ×3, first 2 shown]
	v_fma_f32 v65, 0xbeb58ec6, v18, -v65
	v_dual_fmamk_f32 v131, v18, 0xbf3f9e67, v66 :: v_dual_fmamk_f32 v142, v40, 0xbf3f9e67, v77
	v_fma_f32 v66, 0xbf3f9e67, v18, -v66
	v_dual_fmamk_f32 v136, v22, 0x3df6dbef, v71 :: v_dual_fmamk_f32 v145, v40, 0x3df6dbef, v36
	v_fma_f32 v71, 0x3df6dbef, v22, -v71
	v_fma_f32 v72, 0x3f116cb1, v22, -v72
	v_fmamk_f32 v140, v22, 0xbeb58ec6, v34
	v_fma_f32 v76, 0x3f62ad3f, v40, -v76
	v_fma_f32 v77, 0xbf3f9e67, v40, -v77
	v_fmamk_f32 v143, v40, 0x3f116cb1, v78
	v_fma_f32 v78, 0x3f116cb1, v40, -v78
	v_fma_f32 v79, 0xbeb58ec6, v40, -v79
	;; [unrolled: 1-line block ×3, first 2 shown]
	v_add_f32_e32 v53, v64, v53
	v_dual_fmamk_f32 v135, v18, 0x3f116cb1, v20 :: v_dual_add_f32 v6, v39, v6
	v_fma_f32 v18, 0x3f116cb1, v18, -v20
	v_fmamk_f32 v20, v22, 0xbf3f9e67, v70
	v_fma_f32 v70, 0xbf3f9e67, v22, -v70
	v_fma_f32 v22, 0xbeb58ec6, v22, -v34
	v_fmamk_f32 v34, v40, 0xbf788fa5, v75
	v_fma_f32 v75, 0xbf788fa5, v40, -v75
	v_add_f32_e32 v40, v39, v80
	v_add_f32_e32 v80, v39, v111
	v_add_f32_e32 v111, v39, v113
	v_add_f32_e32 v113, v39, v118
	v_add_f32_e32 v118, v39, v119
	v_dual_add_f32 v119, v39, v120 :: v_dual_add_f32 v4, v4, v105
	v_dual_add_f32 v8, v8, v40 :: v_dual_add_f32 v39, v54, v41
	;; [unrolled: 1-line block ×3, first 2 shown]
	v_add_f32_e32 v42, v122, v111
	v_dual_add_f32 v54, v123, v113 :: v_dual_add_f32 v55, v124, v118
	v_add_f32_e32 v56, v125, v119
	v_add_f32_e32 v6, v10, v6
	;; [unrolled: 1-line block ×5, first 2 shown]
	v_dual_add_f32 v12, v126, v40 :: v_dual_add_f32 v39, v61, v41
	v_dual_add_f32 v40, v127, v42 :: v_dual_add_f32 v41, v62, v43
	v_add_f32_e32 v42, v128, v54
	v_dual_add_f32 v43, v63, v50 :: v_dual_add_f32 v50, v129, v55
	v_add_f32_e32 v54, v130, v56
	v_add_f32_e32 v6, v14, v6
	;; [unrolled: 1-line block ×8, first 2 shown]
	v_dual_add_f32 v14, v66, v39 :: v_dual_add_f32 v39, v67, v41
	v_dual_add_f32 v41, v68, v43 :: v_dual_add_f32 v50, v135, v54
	;; [unrolled: 1-line block ×3, first 2 shown]
	v_add_f32_e32 v4, v4, v112
	v_add_f32_e32 v10, v65, v10
	;; [unrolled: 1-line block ×7, first 2 shown]
	v_dual_add_f32 v18, v72, v39 :: v_dual_add_f32 v39, v73, v41
	v_add_f32_e32 v42, v140, v50
	v_add_f32_e32 v6, v22, v6
	v_dual_add_f32 v41, v74, v43 :: v_dual_add_f32 v14, v71, v14
	v_add_f32_e32 v4, v4, v115
	v_add_f32_e32 v10, v70, v10
	;; [unrolled: 1-line block ×7, first 2 shown]
	v_dual_add_f32 v22, v78, v39 :: v_dual_add_f32 v39, v145, v42
	v_add_f32_e32 v6, v36, v6
	v_add_f32_e32 v36, v79, v41
	;; [unrolled: 1-line block ×6, first 2 shown]
	ds_store_2addr_b32 v101, v12, v16 offset0:8 offset1:12
	ds_store_2addr_b32 v101, v20, v34 offset0:16 offset1:20
	;; [unrolled: 1-line block ×5, first 2 shown]
	ds_store_2addr_b32 v101, v4, v8 offset1:4
	ds_store_b32 v101, v10 offset:192
	s_and_saveexec_b32 s1, s0
	s_cbranch_execz .LBB0_17
; %bb.16:
	v_dual_sub_f32 v4, v52, v46 :: v_dual_sub_f32 v43, v1, v0
	v_dual_add_f32 v6, v102, v103 :: v_dual_sub_f32 v39, v3, v2
	v_sub_f32_e32 v10, v51, v49
	s_delay_alu instid0(VALU_DEP_3)
	v_mul_f32_e32 v14, 0xbe750f2a, v4
	v_add_f32_e32 v8, v99, v100
	v_add_f32_e32 v36, v93, v94
	v_sub_f32_e32 v20, v47, v44
	v_mul_f32_e32 v22, 0x3eedf032, v10
	v_fma_f32 v34, 0xbf788fa5, v6, -v14
	v_add_f32_e32 v64, v35, v102
	s_delay_alu instid0(VALU_DEP_4) | instskip(NEXT) | instid1(VALU_DEP_4)
	v_mul_f32_e32 v50, 0x3f52af12, v20
	v_fma_f32 v41, 0x3f62ad3f, v8, -v22
	s_delay_alu instid0(VALU_DEP_4) | instskip(NEXT) | instid1(VALU_DEP_1)
	v_add_f32_e32 v34, v35, v34
	v_dual_add_f32 v34, v41, v34 :: v_dual_mul_f32 v41, 0xbf6f5d39, v39
	v_sub_f32_e32 v16, v48, v45
	v_fmac_f32_e32 v22, 0x3f62ad3f, v8
	s_delay_alu instid0(VALU_DEP_3) | instskip(SKIP_1) | instid1(VALU_DEP_4)
	v_fma_f32 v55, 0xbeb58ec6, v36, -v41
	v_dual_fmac_f32 v41, 0xbeb58ec6, v36 :: v_dual_add_f32 v12, v97, v98
	v_mul_f32_e32 v40, 0xbf29c268, v16
	v_mul_f32_e32 v60, 0x3eedf032, v16
	;; [unrolled: 1-line block ×3, first 2 shown]
	s_delay_alu instid0(VALU_DEP_3) | instskip(NEXT) | instid1(VALU_DEP_1)
	v_fma_f32 v53, 0xbf3f9e67, v12, -v40
	v_dual_add_f32 v34, v53, v34 :: v_dual_mul_f32 v53, 0xbf29c268, v4
	v_add_f32_e32 v18, v95, v96
	v_add_f32_e32 v42, v91, v92
	v_mul_f32_e32 v56, 0x3f7e222b, v10
	v_mul_f32_e32 v61, 0xbe750f2a, v10
	s_delay_alu instid0(VALU_DEP_4) | instskip(NEXT) | instid1(VALU_DEP_1)
	v_fma_f32 v54, 0x3f116cb1, v18, -v50
	v_add_f32_e32 v34, v54, v34
	v_fma_f32 v54, 0xbf3f9e67, v6, -v53
	v_fmac_f32_e32 v53, 0xbf3f9e67, v6
	v_fmac_f32_e32 v50, 0x3f116cb1, v18
	s_delay_alu instid0(VALU_DEP_4) | instskip(NEXT) | instid1(VALU_DEP_3)
	v_dual_add_f32 v34, v55, v34 :: v_dual_mul_f32 v55, 0xbf52af12, v16
	v_dual_add_f32 v53, v35, v53 :: v_dual_fmac_f32 v14, 0xbf788fa5, v6
	v_fmac_f32_e32 v40, 0xbf3f9e67, v12
	s_delay_alu instid0(VALU_DEP_2) | instskip(NEXT) | instid1(VALU_DEP_1)
	v_add_f32_e32 v14, v35, v14
	v_add_f32_e32 v14, v22, v14
	v_mul_f32_e32 v22, 0x3f7e222b, v43
	s_delay_alu instid0(VALU_DEP_2) | instskip(SKIP_2) | instid1(VALU_DEP_4)
	v_add_f32_e32 v14, v40, v14
	v_add_f32_e32 v40, v35, v54
	v_fma_f32 v54, 0x3df6dbef, v8, -v56
	v_fma_f32 v57, 0x3df6dbef, v42, -v22
	v_fmac_f32_e32 v56, 0x3df6dbef, v8
	v_add_f32_e32 v14, v50, v14
	v_fma_f32 v50, 0x3f116cb1, v12, -v55
	s_delay_alu instid0(VALU_DEP_4) | instskip(NEXT) | instid1(VALU_DEP_4)
	v_dual_fmac_f32 v55, 0x3f116cb1, v12 :: v_dual_add_f32 v34, v57, v34
	v_add_f32_e32 v53, v56, v53
	v_dual_mul_f32 v57, 0x3f29c268, v10 :: v_dual_add_f32 v40, v54, v40
	v_mul_f32_e32 v54, 0x3e750f2a, v20
	v_add_f32_e32 v14, v41, v14
	s_delay_alu instid0(VALU_DEP_4) | instskip(NEXT) | instid1(VALU_DEP_4)
	v_dual_fmac_f32 v22, 0x3df6dbef, v42 :: v_dual_add_f32 v53, v55, v53
	v_add_f32_e32 v40, v50, v40
	s_delay_alu instid0(VALU_DEP_4) | instskip(SKIP_1) | instid1(VALU_DEP_4)
	v_fma_f32 v41, 0xbf788fa5, v18, -v54
	v_mul_f32_e32 v50, 0x3eedf032, v39
	v_add_f32_e32 v14, v22, v14
	v_mul_f32_e32 v22, 0xbf6f5d39, v4
	v_fmac_f32_e32 v54, 0xbf788fa5, v18
	v_add_f32_e32 v40, v41, v40
	v_fma_f32 v41, 0x3f62ad3f, v36, -v50
	v_fma_f32 v58, 0xbf3f9e67, v8, -v57
	;; [unrolled: 1-line block ×3, first 2 shown]
	v_dual_add_f32 v53, v54, v53 :: v_dual_fmac_f32 v50, 0x3f62ad3f, v36
	s_delay_alu instid0(VALU_DEP_4) | instskip(NEXT) | instid1(VALU_DEP_3)
	v_dual_add_f32 v40, v41, v40 :: v_dual_mul_f32 v41, 0xbf6f5d39, v43
	v_add_f32_e32 v56, v35, v56
	v_fmac_f32_e32 v22, 0xbeb58ec6, v6
	s_delay_alu instid0(VALU_DEP_4) | instskip(NEXT) | instid1(VALU_DEP_4)
	v_dual_add_f32 v50, v50, v53 :: v_dual_fmac_f32 v57, 0xbf3f9e67, v8
	v_fma_f32 v55, 0xbeb58ec6, v42, -v41
	s_delay_alu instid0(VALU_DEP_4)
	v_add_f32_e32 v54, v58, v56
	v_mul_f32_e32 v56, 0xbf7e222b, v20
	v_fmac_f32_e32 v41, 0xbeb58ec6, v42
	v_add_f32_e32 v22, v35, v22
	v_add_f32_e32 v40, v55, v40
	v_fma_f32 v55, 0x3f62ad3f, v12, -v60
	s_delay_alu instid0(VALU_DEP_4) | instskip(NEXT) | instid1(VALU_DEP_4)
	v_dual_mul_f32 v58, 0xbf7e222b, v4 :: v_dual_add_f32 v41, v41, v50
	v_add_f32_e32 v22, v57, v22
	s_delay_alu instid0(VALU_DEP_3) | instskip(SKIP_3) | instid1(VALU_DEP_4)
	v_dual_fmac_f32 v60, 0x3f62ad3f, v12 :: v_dual_add_f32 v53, v55, v54
	v_fma_f32 v54, 0x3df6dbef, v18, -v56
	v_mul_f32_e32 v55, 0x3e750f2a, v39
	v_fma_f32 v57, 0x3df6dbef, v6, -v58
	v_add_f32_e32 v22, v60, v22
	v_fmac_f32_e32 v56, 0x3df6dbef, v18
	v_add_f32_e32 v50, v54, v53
	v_fma_f32 v53, 0xbf788fa5, v36, -v55
	v_mul_f32_e32 v54, 0x3f52af12, v43
	v_mul_f32_e32 v60, 0x3f6f5d39, v16
	v_dual_add_f32 v22, v56, v22 :: v_dual_fmac_f32 v55, 0xbf788fa5, v36
	s_delay_alu instid0(VALU_DEP_4) | instskip(NEXT) | instid1(VALU_DEP_4)
	v_add_f32_e32 v50, v53, v50
	v_fma_f32 v53, 0x3f116cb1, v42, -v54
	v_fmac_f32_e32 v58, 0x3df6dbef, v6
	v_fma_f32 v56, 0xbeb58ec6, v12, -v60
	v_add_f32_e32 v22, v55, v22
	v_fmac_f32_e32 v54, 0x3f116cb1, v42
	v_dual_add_f32 v50, v53, v50 :: v_dual_add_f32 v53, v35, v57
	v_fma_f32 v57, 0xbf788fa5, v8, -v61
	v_add_f32_e32 v55, v35, v58
	v_fmac_f32_e32 v61, 0xbf788fa5, v8
	v_mul_f32_e32 v58, 0xbf52af12, v39
	s_delay_alu instid0(VALU_DEP_4) | instskip(SKIP_1) | instid1(VALU_DEP_4)
	v_dual_fmac_f32 v60, 0xbeb58ec6, v12 :: v_dual_add_f32 v53, v57, v53
	v_mul_f32_e32 v57, 0x3eedf032, v20
	v_dual_add_f32 v55, v61, v55 :: v_dual_add_f32 v22, v54, v22
	s_delay_alu instid0(VALU_DEP_3) | instskip(NEXT) | instid1(VALU_DEP_3)
	v_dual_mul_f32 v54, 0xbf52af12, v4 :: v_dual_add_f32 v53, v56, v53
	v_fma_f32 v56, 0x3f62ad3f, v18, -v57
	s_delay_alu instid0(VALU_DEP_3) | instskip(SKIP_1) | instid1(VALU_DEP_4)
	v_add_f32_e32 v55, v60, v55
	v_fmac_f32_e32 v57, 0x3f62ad3f, v18
	v_fma_f32 v60, 0x3f116cb1, v6, -v54
	v_mul_f32_e32 v61, 0xbf6f5d39, v10
	v_add_f32_e32 v53, v56, v53
	v_fma_f32 v56, 0x3f116cb1, v36, -v58
	v_dual_add_f32 v55, v57, v55 :: v_dual_fmac_f32 v58, 0x3f116cb1, v36
	v_add_f32_e32 v60, v35, v60
	v_fma_f32 v62, 0xbeb58ec6, v8, -v61
	s_delay_alu instid0(VALU_DEP_4) | instskip(NEXT) | instid1(VALU_DEP_4)
	v_dual_add_f32 v53, v56, v53 :: v_dual_mul_f32 v56, 0xbf29c268, v43
	v_dual_add_f32 v55, v58, v55 :: v_dual_fmac_f32 v54, 0x3f116cb1, v6
	s_delay_alu instid0(VALU_DEP_3) | instskip(SKIP_1) | instid1(VALU_DEP_4)
	v_add_f32_e32 v58, v62, v60
	v_fma_f32 v60, 0xbf788fa5, v12, -v63
	v_fma_f32 v57, 0xbf3f9e67, v42, -v56
	v_fmac_f32_e32 v56, 0xbf3f9e67, v42
	v_mul_f32_e32 v62, 0x3f29c268, v20
	v_dual_add_f32 v54, v35, v54 :: v_dual_fmac_f32 v61, 0xbeb58ec6, v8
	v_fmac_f32_e32 v63, 0xbf788fa5, v12
	s_delay_alu instid0(VALU_DEP_4)
	v_add_f32_e32 v55, v56, v55
	v_add_f32_e32 v56, v60, v58
	v_fma_f32 v58, 0xbf3f9e67, v18, -v62
	v_mul_f32_e32 v60, 0x3f7e222b, v39
	v_dual_add_f32 v54, v61, v54 :: v_dual_add_f32 v61, v64, v99
	v_fmac_f32_e32 v62, 0xbf3f9e67, v18
	s_delay_alu instid0(VALU_DEP_4) | instskip(NEXT) | instid1(VALU_DEP_4)
	v_add_f32_e32 v56, v58, v56
	v_fma_f32 v58, 0x3df6dbef, v36, -v60
	s_delay_alu instid0(VALU_DEP_4)
	v_add_f32_e32 v54, v63, v54
	v_mul_f32_e32 v4, 0xbeedf032, v4
	v_fmac_f32_e32 v60, 0x3df6dbef, v36
	v_mul_f32_e32 v10, 0xbf52af12, v10
	v_add_f32_e32 v56, v58, v56
	v_add_f32_e32 v58, v61, v97
	;; [unrolled: 1-line block ×3, first 2 shown]
	v_fma_f32 v62, 0x3f62ad3f, v6, -v4
	v_fmac_f32_e32 v4, 0x3f62ad3f, v6
	v_mul_f32_e32 v16, 0xbf7e222b, v16
	v_add_f32_e32 v58, v58, v95
	v_add_f32_e32 v6, v60, v54
	v_mul_f32_e32 v20, 0xbf6f5d39, v20
	v_add_f32_e32 v4, v35, v4
	s_delay_alu instid0(VALU_DEP_4) | instskip(SKIP_3) | instid1(VALU_DEP_4)
	v_dual_add_f32 v35, v35, v62 :: v_dual_add_f32 v54, v58, v93
	v_fma_f32 v58, 0x3f116cb1, v8, -v10
	v_fmac_f32_e32 v10, 0x3f116cb1, v8
	v_mul_f32_e32 v64, 0x3eedf032, v43
	v_add_f32_e32 v8, v54, v91
	v_fma_f32 v54, 0x3df6dbef, v12, -v16
	s_delay_alu instid0(VALU_DEP_4) | instskip(SKIP_4) | instid1(VALU_DEP_4)
	v_add_f32_e32 v4, v10, v4
	v_fmac_f32_e32 v16, 0x3df6dbef, v12
	v_add_f32_e32 v10, v58, v35
	v_add_f32_e32 v8, v8, v92
	v_fma_f32 v12, 0xbeb58ec6, v18, -v20
	v_dual_mul_f32 v35, 0xbf29c268, v39 :: v_dual_add_f32 v4, v16, v4
	v_fmac_f32_e32 v20, 0xbeb58ec6, v18
	s_delay_alu instid0(VALU_DEP_4) | instskip(SKIP_1) | instid1(VALU_DEP_4)
	v_add_f32_e32 v8, v8, v94
	v_add_f32_e32 v10, v54, v10
	v_fma_f32 v16, 0xbf3f9e67, v36, -v35
	v_fmac_f32_e32 v35, 0xbf3f9e67, v36
	v_mul_f32_e32 v18, 0xbe750f2a, v43
	v_add_f32_e32 v8, v8, v96
	v_add_f32_e32 v4, v20, v4
	;; [unrolled: 1-line block ×3, first 2 shown]
	v_mul_u32_u24_e32 v12, 52, v90
	v_fma_f32 v20, 0xbf788fa5, v42, -v18
	v_add_f32_e32 v8, v8, v98
	v_add_f32_e32 v4, v35, v4
	v_fmac_f32_e32 v18, 0xbf788fa5, v42
	v_or_b32_e32 v12, v12, v25
	v_fma_f32 v61, 0x3f62ad3f, v42, -v64
	v_add_f32_e32 v8, v8, v100
	v_fmac_f32_e32 v64, 0x3f62ad3f, v42
	v_add_f32_e32 v10, v16, v10
	v_add_f32_e32 v4, v18, v4
	v_lshl_add_u32 v12, v12, 2, 0
	v_add_f32_e32 v8, v8, v103
	v_add_f32_e32 v6, v64, v6
	;; [unrolled: 1-line block ×5, first 2 shown]
	ds_store_2addr_b32 v12, v8, v4 offset1:4
	ds_store_2addr_b32 v12, v6, v55 offset0:8 offset1:12
	ds_store_2addr_b32 v12, v22, v41 offset0:16 offset1:20
	;; [unrolled: 1-line block ×5, first 2 shown]
	ds_store_b32 v12, v10 offset:192
.LBB0_17:
	s_or_b32 exec_lo, exec_lo, s1
	v_add_f32_e32 v10, v59, v23
	v_add_f32_e32 v6, v38, v21
	v_sub_f32_e32 v54, v104, v105
	s_waitcnt lgkmcnt(0)
	s_barrier
	v_mul_f32_e32 v35, 0xbeb58ec6, v10
	v_mul_f32_e32 v22, 0xbf3f9e67, v6
	v_sub_f32_e32 v12, v114, v115
	v_sub_f32_e32 v8, v116, v117
	v_mul_f32_e32 v14, 0x3f62ad3f, v6
	v_mul_f32_e32 v18, 0x3df6dbef, v6
	;; [unrolled: 1-line block ×3, first 2 shown]
	v_fmamk_f32 v53, v12, 0x3f6f5d39, v35
	v_dual_fmac_f32 v35, 0xbf6f5d39, v12 :: v_dual_add_f32 v4, v37, v38
	v_fmamk_f32 v39, v8, 0x3eedf032, v14
	v_fmamk_f32 v41, v8, 0x3f7e222b, v18
	;; [unrolled: 1-line block ×3, first 2 shown]
	v_mul_f32_e32 v16, 0x3f116cb1, v6
	v_add_f32_e32 v4, v4, v59
	s_delay_alu instid0(VALU_DEP_4) | instskip(NEXT) | instid1(VALU_DEP_3)
	v_dual_mul_f32 v6, 0xbf788fa5, v6 :: v_dual_add_f32 v41, v37, v41
	v_dual_add_f32 v43, v37, v43 :: v_dual_fmamk_f32 v40, v8, 0x3f52af12, v16
	v_fmac_f32_e32 v16, 0xbf52af12, v8
	s_delay_alu instid0(VALU_DEP_3) | instskip(SKIP_2) | instid1(VALU_DEP_4)
	v_fmamk_f32 v50, v8, 0x3e750f2a, v6
	v_dual_add_f32 v4, v4, v17 :: v_dual_add_f32 v17, v17, v19
	v_mul_f32_e32 v36, 0xbf788fa5, v10
	v_add_f32_e32 v16, v37, v16
	s_delay_alu instid0(VALU_DEP_3) | instskip(SKIP_2) | instid1(VALU_DEP_4)
	v_dual_add_f32 v39, v37, v39 :: v_dual_add_f32 v4, v4, v13
	v_add_f32_e32 v13, v13, v15
	v_add_f32_e32 v40, v37, v40
	v_dual_add_f32 v16, v35, v16 :: v_dual_mul_f32 v35, 0x3df6dbef, v10
	s_delay_alu instid0(VALU_DEP_4)
	v_add_f32_e32 v4, v4, v9
	v_mul_f32_e32 v38, 0xbf3f9e67, v10
	v_fmamk_f32 v42, v8, 0x3f6f5d39, v20
	v_fmac_f32_e32 v20, 0xbf6f5d39, v8
	v_fmac_f32_e32 v6, 0xbe750f2a, v8
	v_add_f32_e32 v4, v4, v5
	buffer_gl0_inv
	v_add_f32_e32 v9, v9, v11
	v_add_f32_e32 v20, v37, v20
	;; [unrolled: 1-line block ×5, first 2 shown]
	s_delay_alu instid0(VALU_DEP_2) | instskip(NEXT) | instid1(VALU_DEP_2)
	v_dual_mul_f32 v7, 0xbeb58ec6, v9 :: v_dual_add_f32 v4, v4, v11
	v_mul_f32_e32 v68, 0x3df6dbef, v5
	v_mul_f32_e32 v61, 0x3f116cb1, v5
	s_delay_alu instid0(VALU_DEP_3) | instskip(NEXT) | instid1(VALU_DEP_3)
	v_dual_mul_f32 v67, 0xbeb58ec6, v5 :: v_dual_add_f32 v4, v4, v15
	v_fmamk_f32 v70, v54, 0xbf7e222b, v68
	v_fmac_f32_e32 v68, 0x3f7e222b, v54
	s_delay_alu instid0(VALU_DEP_3) | instskip(NEXT) | instid1(VALU_DEP_4)
	v_fmamk_f32 v69, v54, 0x3f6f5d39, v67
	v_dual_fmac_f32 v67, 0xbf6f5d39, v54 :: v_dual_add_f32 v4, v4, v19
	v_fmamk_f32 v19, v12, 0xbf7e222b, v35
	s_delay_alu instid0(VALU_DEP_2) | instskip(SKIP_1) | instid1(VALU_DEP_3)
	v_dual_fmac_f32 v35, 0x3f7e222b, v12 :: v_dual_add_f32 v4, v4, v23
	v_add_f32_e32 v23, v37, v50
	v_dual_mul_f32 v34, 0x3f116cb1, v10 :: v_dual_add_f32 v19, v19, v43
	v_fmac_f32_e32 v22, 0xbf29c268, v8
	s_delay_alu instid0(VALU_DEP_4) | instskip(SKIP_4) | instid1(VALU_DEP_4)
	v_add_f32_e32 v50, v4, v21
	v_fmamk_f32 v21, v12, 0x3e750f2a, v36
	v_fmac_f32_e32 v36, 0xbe750f2a, v12
	v_mul_f32_e32 v10, 0x3f62ad3f, v10
	v_add_nc_u32_e32 v43, 0x400, v27
	v_dual_add_f32 v21, v21, v41 :: v_dual_fmac_f32 v18, 0xbf7e222b, v8
	s_delay_alu instid0(VALU_DEP_1) | instskip(NEXT) | instid1(VALU_DEP_1)
	v_dual_add_f32 v18, v37, v18 :: v_dual_add_nc_u32 v41, 0x200, v27
	v_add_f32_e32 v18, v36, v18
	v_sub_f32_e32 v36, v110, v112
	v_fmac_f32_e32 v14, 0xbeedf032, v8
	v_fmamk_f32 v8, v12, 0x3f52af12, v34
	v_fmac_f32_e32 v34, 0xbf52af12, v12
	v_add_f32_e32 v42, v37, v42
	v_add_f32_e32 v22, v37, v22
	v_dual_add_f32 v14, v37, v14 :: v_dual_mul_f32 v37, 0x3df6dbef, v17
	v_add_f32_e32 v8, v8, v39
	v_dual_add_f32 v4, v53, v40 :: v_dual_add_nc_u32 v39, 0xa00, v27
	s_delay_alu instid0(VALU_DEP_3) | instskip(SKIP_3) | instid1(VALU_DEP_2)
	v_add_f32_e32 v14, v34, v14
	v_fmamk_f32 v34, v12, 0xbf29c268, v38
	v_fmac_f32_e32 v38, 0x3f29c268, v12
	v_add_nc_u32_e32 v40, 0xc00, v27
	v_add_f32_e32 v20, v38, v20
	v_fmamk_f32 v38, v12, 0xbeedf032, v10
	v_fmac_f32_e32 v10, 0x3eedf032, v12
	v_add_f32_e32 v12, v35, v22
	v_fmamk_f32 v22, v36, 0x3f7e222b, v37
	v_mul_f32_e32 v35, 0xbf788fa5, v17
	s_delay_alu instid0(VALU_DEP_4) | instskip(SKIP_1) | instid1(VALU_DEP_4)
	v_dual_fmac_f32 v37, 0xbf7e222b, v36 :: v_dual_add_f32 v6, v10, v6
	v_add_f32_e32 v23, v38, v23
	v_add_f32_e32 v8, v22, v8
	s_delay_alu instid0(VALU_DEP_4) | instskip(SKIP_2) | instid1(VALU_DEP_3)
	v_fmamk_f32 v10, v36, 0x3e750f2a, v35
	v_mul_f32_e32 v22, 0xbeb58ec6, v17
	v_dual_fmac_f32 v35, 0xbe750f2a, v36 :: v_dual_add_f32 v14, v37, v14
	v_dual_mul_f32 v37, 0x3f62ad3f, v17 :: v_dual_add_f32 v4, v10, v4
	s_delay_alu instid0(VALU_DEP_3) | instskip(NEXT) | instid1(VALU_DEP_3)
	v_fmamk_f32 v10, v36, 0xbf6f5d39, v22
	v_add_f32_e32 v16, v35, v16
	v_fmac_f32_e32 v22, 0x3f6f5d39, v36
	s_delay_alu instid0(VALU_DEP_4) | instskip(NEXT) | instid1(VALU_DEP_4)
	v_fmamk_f32 v35, v36, 0xbeedf032, v37
	v_dual_fmac_f32 v37, 0x3eedf032, v36 :: v_dual_add_f32 v10, v10, v21
	s_delay_alu instid0(VALU_DEP_3) | instskip(SKIP_2) | instid1(VALU_DEP_3)
	v_dual_mul_f32 v21, 0x3f116cb1, v17 :: v_dual_add_f32 v18, v22, v18
	v_mul_f32_e32 v17, 0xbf3f9e67, v17
	v_add_nc_u32_e32 v38, 0x800, v27
	v_dual_fmamk_f32 v15, v36, 0x3f52af12, v21 :: v_dual_add_f32 v34, v34, v42
	v_fmac_f32_e32 v21, 0xbf52af12, v36
	v_add_nc_u32_e32 v42, 0x1000, v27
	s_delay_alu instid0(VALU_DEP_3) | instskip(NEXT) | instid1(VALU_DEP_4)
	v_add_f32_e32 v15, v15, v19
	v_add_f32_e32 v22, v35, v34
	v_sub_f32_e32 v34, v108, v109
	v_mul_f32_e32 v35, 0xbeb58ec6, v13
	v_fmamk_f32 v19, v36, 0x3f29c268, v17
	v_fmac_f32_e32 v17, 0xbf29c268, v36
	v_add_f32_e32 v12, v21, v12
	v_mul_f32_e32 v36, 0xbf3f9e67, v13
	v_fmamk_f32 v21, v34, 0x3f6f5d39, v35
	s_delay_alu instid0(VALU_DEP_4) | instskip(SKIP_1) | instid1(VALU_DEP_3)
	v_dual_add_f32 v19, v19, v23 :: v_dual_add_f32 v6, v17, v6
	v_fmac_f32_e32 v35, 0xbf6f5d39, v34
	v_dual_fmamk_f32 v17, v34, 0xbf29c268, v36 :: v_dual_add_f32 v8, v21, v8
	v_mul_f32_e32 v21, 0x3f62ad3f, v13
	s_delay_alu instid0(VALU_DEP_2) | instskip(NEXT) | instid1(VALU_DEP_2)
	v_dual_mul_f32 v23, 0x3df6dbef, v13 :: v_dual_add_f32 v4, v17, v4
	v_fmamk_f32 v17, v34, 0xbeedf032, v21
	v_fmac_f32_e32 v21, 0x3eedf032, v34
	s_delay_alu instid0(VALU_DEP_2) | instskip(NEXT) | instid1(VALU_DEP_2)
	v_dual_add_f32 v10, v17, v10 :: v_dual_mul_f32 v17, 0xbf788fa5, v13
	v_dual_mul_f32 v13, 0x3f116cb1, v13 :: v_dual_add_f32 v18, v21, v18
	s_delay_alu instid0(VALU_DEP_2) | instskip(SKIP_1) | instid1(VALU_DEP_2)
	v_fmamk_f32 v11, v34, 0xbe750f2a, v17
	v_fmac_f32_e32 v17, 0x3e750f2a, v34
	v_add_f32_e32 v11, v11, v15
	s_delay_alu instid0(VALU_DEP_4) | instskip(SKIP_1) | instid1(VALU_DEP_4)
	v_dual_fmamk_f32 v15, v34, 0xbf52af12, v13 :: v_dual_add_f32 v14, v35, v14
	v_fmamk_f32 v35, v34, 0x3f7e222b, v23
	v_dual_fmac_f32 v23, 0xbf7e222b, v34 :: v_dual_add_f32 v12, v17, v12
	s_delay_alu instid0(VALU_DEP_3) | instskip(SKIP_1) | instid1(VALU_DEP_4)
	v_add_f32_e32 v15, v15, v19
	v_mul_f32_e32 v19, 0xbf788fa5, v9
	v_dual_add_f32 v21, v35, v22 :: v_dual_sub_f32 v22, v106, v107
	v_add_f32_e32 v20, v37, v20
	s_delay_alu instid0(VALU_DEP_1) | instskip(NEXT) | instid1(VALU_DEP_1)
	v_dual_add_f32 v20, v23, v20 :: v_dual_mul_f32 v23, 0xbf3f9e67, v9
	v_fmamk_f32 v17, v22, 0x3f29c268, v23
	s_delay_alu instid0(VALU_DEP_1) | instskip(NEXT) | instid1(VALU_DEP_1)
	v_dual_fmac_f32 v23, 0xbf29c268, v22 :: v_dual_add_f32 v8, v17, v8
	v_dual_add_f32 v14, v23, v14 :: v_dual_fmamk_f32 v23, v22, 0xbe750f2a, v19
	v_fmac_f32_e32 v19, 0x3e750f2a, v22
	v_fmac_f32_e32 v13, 0x3f52af12, v34
	v_mul_f32_e32 v17, 0x3f116cb1, v9
	s_delay_alu instid0(VALU_DEP_2) | instskip(SKIP_3) | instid1(VALU_DEP_2)
	v_dual_add_f32 v53, v19, v20 :: v_dual_add_f32 v6, v13, v6
	v_fmamk_f32 v20, v22, 0x3f6f5d39, v7
	v_fmac_f32_e32 v7, 0xbf6f5d39, v22
	v_mul_f32_e32 v19, 0xbf788fa5, v5
	v_dual_add_f32 v57, v20, v15 :: v_dual_add_f32 v58, v7, v6
	v_mul_f32_e32 v7, 0xbf3f9e67, v5
	v_fmac_f32_e32 v36, 0x3f29c268, v34
	v_mul_f32_e32 v34, 0x3df6dbef, v9
	v_mul_f32_e32 v6, 0x3f62ad3f, v5
	s_delay_alu instid0(VALU_DEP_2) | instskip(NEXT) | instid1(VALU_DEP_1)
	v_fmamk_f32 v13, v22, 0xbf7e222b, v34
	v_dual_add_f32 v4, v13, v4 :: v_dual_fmamk_f32 v13, v22, 0x3f52af12, v17
	v_fmac_f32_e32 v17, 0xbf52af12, v22
	s_delay_alu instid0(VALU_DEP_2) | instskip(NEXT) | instid1(VALU_DEP_2)
	v_add_f32_e32 v10, v13, v10
	v_add_f32_e32 v13, v17, v18
	v_mul_f32_e32 v17, 0x3f62ad3f, v9
	s_delay_alu instid0(VALU_DEP_1) | instskip(SKIP_1) | instid1(VALU_DEP_2)
	v_dual_add_f32 v18, v23, v21 :: v_dual_fmamk_f32 v9, v22, 0xbeedf032, v17
	v_fmac_f32_e32 v17, 0x3eedf032, v22
	v_add_f32_e32 v55, v9, v11
	s_delay_alu instid0(VALU_DEP_2) | instskip(SKIP_3) | instid1(VALU_DEP_4)
	v_dual_add_f32 v56, v17, v12 :: v_dual_fmamk_f32 v9, v54, 0x3e750f2a, v19
	v_fmac_f32_e32 v19, 0xbe750f2a, v54
	v_fmamk_f32 v11, v54, 0xbf52af12, v61
	v_fmac_f32_e32 v61, 0x3f52af12, v54
	v_dual_add_f32 v59, v9, v8 :: v_dual_fmamk_f32 v8, v54, 0xbeedf032, v6
	v_fmac_f32_e32 v6, 0x3eedf032, v54
	v_dual_fmamk_f32 v9, v54, 0x3f29c268, v7 :: v_dual_add_f32 v16, v36, v16
	v_dual_fmac_f32 v7, 0xbf29c268, v54 :: v_dual_add_f32 v54, v69, v55
	v_dual_add_f32 v55, v67, v56 :: v_dual_fmac_f32 v34, 0x3f7e222b, v22
	v_dual_add_f32 v53, v61, v53 :: v_dual_add_f32 v60, v19, v14
	s_delay_alu instid0(VALU_DEP_3) | instskip(NEXT) | instid1(VALU_DEP_3)
	v_dual_add_f32 v64, v9, v10 :: v_dual_add_f32 v65, v7, v13
	v_add_f32_e32 v16, v34, v16
	v_add_f32_e32 v66, v11, v18
	ds_load_2addr_b32 v[34:35], v27 offset1:52
	ds_load_2addr_b32 v[36:37], v38 offset0:112 offset1:164
	v_dual_add_f32 v56, v70, v57 :: v_dual_add_f32 v57, v68, v58
	v_add_f32_e32 v62, v8, v4
	v_add_f32_e32 v63, v6, v16
	ds_load_2addr_b32 v[4:5], v27 offset0:104 offset1:156
	ds_load_2addr_b32 v[18:19], v39 offset0:88 offset1:140
	ds_load_2addr_b32 v[8:9], v41 offset0:80 offset1:132
	ds_load_2addr_b32 v[22:23], v40 offset0:64 offset1:116
	ds_load_2addr_b32 v[12:13], v43 offset0:56 offset1:108
	ds_load_2addr_b32 v[20:21], v40 offset0:168 offset1:220
	ds_load_2addr_b32 v[10:11], v43 offset0:160 offset1:212
	ds_load_2addr_b32 v[16:17], v42 offset0:16 offset1:68
	ds_load_2addr_b32 v[6:7], v38 offset0:8 offset1:60
	ds_load_2addr_b32 v[14:15], v42 offset0:120 offset1:172
	s_waitcnt lgkmcnt(0)
	s_barrier
	buffer_gl0_inv
	ds_store_2addr_b32 v101, v50, v59 offset1:4
	ds_store_2addr_b32 v101, v62, v64 offset0:8 offset1:12
	ds_store_2addr_b32 v101, v66, v54 offset0:16 offset1:20
	;; [unrolled: 1-line block ×5, first 2 shown]
	ds_store_b32 v101, v60 offset:192
	s_and_saveexec_b32 s1, s0
	s_cbranch_execz .LBB0_19
; %bb.18:
	v_dual_add_f32 v50, v33, v52 :: v_dual_sub_f32 v53, v102, v103
	v_dual_add_f32 v52, v52, v46 :: v_dual_sub_f32 v55, v99, v100
	v_add_f32_e32 v54, v51, v49
	s_delay_alu instid0(VALU_DEP_2) | instskip(SKIP_1) | instid1(VALU_DEP_3)
	v_dual_add_f32 v50, v50, v51 :: v_dual_mul_f32 v57, 0x3df6dbef, v52
	v_mul_f32_e32 v51, 0x3f62ad3f, v52
	v_dual_mul_f32 v58, 0xbeb58ec6, v52 :: v_dual_mul_f32 v61, 0xbeb58ec6, v54
	s_delay_alu instid0(VALU_DEP_3) | instskip(SKIP_1) | instid1(VALU_DEP_3)
	v_dual_add_f32 v50, v50, v48 :: v_dual_mul_f32 v63, 0xbf3f9e67, v54
	v_mul_f32_e32 v59, 0xbf3f9e67, v52
	v_fmamk_f32 v67, v53, 0x3f6f5d39, v58
	v_mul_f32_e32 v62, 0xbf788fa5, v54
	s_delay_alu instid0(VALU_DEP_4) | instskip(SKIP_3) | instid1(VALU_DEP_4)
	v_add_f32_e32 v50, v50, v47
	v_fmamk_f32 v70, v55, 0x3f6f5d39, v61
	v_dual_fmac_f32 v58, 0xbf6f5d39, v53 :: v_dual_fmac_f32 v61, 0xbf6f5d39, v55
	v_add_f32_e32 v67, v33, v67
	v_add_f32_e32 v50, v50, v3
	s_delay_alu instid0(VALU_DEP_3) | instskip(NEXT) | instid1(VALU_DEP_2)
	v_add_f32_e32 v58, v33, v58
	v_add_f32_e32 v50, v50, v1
	s_delay_alu instid0(VALU_DEP_1) | instskip(SKIP_1) | instid1(VALU_DEP_2)
	v_add_f32_e32 v50, v50, v0
	v_add_f32_e32 v0, v1, v0
	;; [unrolled: 1-line block ×4, first 2 shown]
	s_delay_alu instid0(VALU_DEP_2) | instskip(NEXT) | instid1(VALU_DEP_1)
	v_add_f32_e32 v50, v50, v44
	v_add_f32_e32 v50, v50, v45
	v_dual_fmamk_f32 v64, v53, 0x3eedf032, v51 :: v_dual_add_f32 v45, v48, v45
	s_delay_alu instid0(VALU_DEP_2) | instskip(NEXT) | instid1(VALU_DEP_2)
	v_add_f32_e32 v49, v50, v49
	v_dual_fmac_f32 v51, 0xbeedf032, v53 :: v_dual_add_f32 v64, v33, v64
	v_mul_f32_e32 v56, 0x3f116cb1, v52
	s_delay_alu instid0(VALU_DEP_3) | instskip(NEXT) | instid1(VALU_DEP_3)
	v_add_f32_e32 v46, v49, v46
	v_add_f32_e32 v51, v33, v51
	v_fmamk_f32 v66, v53, 0x3f7e222b, v57
	s_delay_alu instid0(VALU_DEP_4) | instskip(NEXT) | instid1(VALU_DEP_1)
	v_fmamk_f32 v65, v53, 0x3f52af12, v56
	v_dual_mul_f32 v52, 0xbf788fa5, v52 :: v_dual_add_f32 v65, v33, v65
	v_fmamk_f32 v68, v53, 0x3f29c268, v59
	v_fmac_f32_e32 v59, 0xbf29c268, v53
	v_fmac_f32_e32 v56, 0xbf52af12, v53
	s_delay_alu instid0(VALU_DEP_4)
	v_fmamk_f32 v69, v53, 0x3e750f2a, v52
	v_fmac_f32_e32 v52, 0xbe750f2a, v53
	v_add_f32_e32 v49, v70, v65
	v_add_f32_e32 v59, v33, v59
	v_dual_fmac_f32 v57, 0xbf7e222b, v53 :: v_dual_add_f32 v56, v33, v56
	v_mul_f32_e32 v60, 0x3f116cb1, v54
	v_add_f32_e32 v68, v33, v68
	s_delay_alu instid0(VALU_DEP_3) | instskip(NEXT) | instid1(VALU_DEP_3)
	v_add_f32_e32 v57, v33, v57
	v_dual_add_f32 v56, v61, v56 :: v_dual_fmamk_f32 v53, v55, 0x3f52af12, v60
	v_fmac_f32_e32 v60, 0xbf52af12, v55
	v_dual_mul_f32 v61, 0x3df6dbef, v54 :: v_dual_add_f32 v50, v33, v69
	s_delay_alu instid0(VALU_DEP_2)
	v_dual_add_f32 v51, v60, v51 :: v_dual_mul_f32 v54, 0x3f62ad3f, v54
	v_add_f32_e32 v66, v33, v66
	v_add_f32_e32 v33, v33, v52
	v_dual_add_f32 v52, v53, v64 :: v_dual_fmamk_f32 v53, v55, 0x3e750f2a, v62
	v_fmamk_f32 v48, v55, 0xbf7e222b, v61
	v_fmac_f32_e32 v61, 0x3f7e222b, v55
	v_fmamk_f32 v60, v55, 0xbf29c268, v63
	v_fmac_f32_e32 v63, 0x3f29c268, v55
	;; [unrolled: 2-line block ×3, first 2 shown]
	v_fmac_f32_e32 v62, 0xbe750f2a, v55
	s_delay_alu instid0(VALU_DEP_4) | instskip(SKIP_1) | instid1(VALU_DEP_4)
	v_dual_add_f32 v55, v61, v59 :: v_dual_add_f32 v58, v63, v58
	v_mul_f32_e32 v63, 0x3df6dbef, v45
	v_add_f32_e32 v33, v54, v33
	s_delay_alu instid0(VALU_DEP_4) | instskip(SKIP_2) | instid1(VALU_DEP_3)
	v_dual_add_f32 v57, v62, v57 :: v_dual_sub_f32 v62, v97, v98
	v_dual_add_f32 v60, v60, v67 :: v_dual_mul_f32 v61, 0xbf788fa5, v45
	v_add_f32_e32 v53, v53, v66
	v_fmamk_f32 v59, v62, 0x3f7e222b, v63
	v_fmac_f32_e32 v63, 0xbf7e222b, v62
	s_delay_alu instid0(VALU_DEP_1) | instskip(SKIP_4) | instid1(VALU_DEP_3)
	v_add_f32_e32 v51, v63, v51
	v_mul_f32_e32 v63, 0x3f62ad3f, v45
	v_fmamk_f32 v54, v62, 0x3e750f2a, v61
	v_dual_add_f32 v52, v59, v52 :: v_dual_mul_f32 v59, 0xbeb58ec6, v45
	v_fmac_f32_e32 v61, 0xbe750f2a, v62
	v_dual_add_f32 v49, v54, v49 :: v_dual_add_f32 v48, v48, v68
	s_delay_alu instid0(VALU_DEP_2) | instskip(NEXT) | instid1(VALU_DEP_4)
	v_dual_add_f32 v56, v61, v56 :: v_dual_fmamk_f32 v61, v62, 0xbeedf032, v63
	v_fmamk_f32 v54, v62, 0xbf6f5d39, v59
	v_fmac_f32_e32 v59, 0x3f6f5d39, v62
	v_fmac_f32_e32 v63, 0x3eedf032, v62
	s_delay_alu instid0(VALU_DEP_2)
	v_add_f32_e32 v57, v59, v57
	v_dual_add_f32 v59, v61, v60 :: v_dual_add_f32 v50, v64, v50
	v_add_f32_e32 v53, v54, v53
	v_mul_f32_e32 v54, 0x3f116cb1, v45
	v_dual_add_f32 v58, v63, v58 :: v_dual_mul_f32 v45, 0xbf3f9e67, v45
	v_add_f32_e32 v44, v47, v44
	s_delay_alu instid0(VALU_DEP_3) | instskip(NEXT) | instid1(VALU_DEP_1)
	v_dual_sub_f32 v60, v95, v96 :: v_dual_fmamk_f32 v47, v62, 0x3f52af12, v54
	v_dual_add_f32 v47, v47, v48 :: v_dual_fmamk_f32 v48, v62, 0x3f29c268, v45
	v_fmac_f32_e32 v45, 0xbf29c268, v62
	v_fmac_f32_e32 v54, 0xbf52af12, v62
	v_mul_f32_e32 v62, 0xbf3f9e67, v44
	v_mul_f32_e32 v3, 0x3f116cb1, v44
	s_delay_alu instid0(VALU_DEP_4) | instskip(NEXT) | instid1(VALU_DEP_4)
	v_add_f32_e32 v33, v45, v33
	v_dual_mul_f32 v61, 0xbeb58ec6, v44 :: v_dual_add_f32 v54, v54, v55
	s_delay_alu instid0(VALU_DEP_1) | instskip(SKIP_1) | instid1(VALU_DEP_2)
	v_fmamk_f32 v55, v60, 0x3f6f5d39, v61
	v_fmac_f32_e32 v61, 0xbf6f5d39, v60
	v_dual_add_f32 v45, v55, v52 :: v_dual_add_f32 v48, v48, v50
	v_mul_f32_e32 v55, 0x3df6dbef, v44
	s_delay_alu instid0(VALU_DEP_3) | instskip(NEXT) | instid1(VALU_DEP_2)
	v_add_f32_e32 v51, v61, v51
	v_fmamk_f32 v61, v60, 0x3f7e222b, v55
	v_fmamk_f32 v50, v60, 0xbf29c268, v62
	v_fmac_f32_e32 v55, 0xbf7e222b, v60
	s_delay_alu instid0(VALU_DEP_2) | instskip(NEXT) | instid1(VALU_DEP_1)
	v_dual_mul_f32 v52, 0x3f62ad3f, v44 :: v_dual_add_f32 v49, v50, v49
	v_dual_add_f32 v55, v55, v58 :: v_dual_fmamk_f32 v50, v60, 0xbeedf032, v52
	v_fmac_f32_e32 v52, 0x3eedf032, v60
	v_sub_f32_e32 v58, v93, v94
	s_delay_alu instid0(VALU_DEP_2) | instskip(SKIP_2) | instid1(VALU_DEP_2)
	v_dual_add_f32 v52, v52, v57 :: v_dual_add_f32 v57, v61, v59
	v_fmamk_f32 v61, v60, 0xbf52af12, v3
	v_fmac_f32_e32 v3, 0x3f52af12, v60
	v_dual_mul_f32 v59, 0xbf3f9e67, v2 :: v_dual_add_f32 v48, v61, v48
	s_delay_alu instid0(VALU_DEP_2) | instskip(SKIP_1) | instid1(VALU_DEP_1)
	v_add_f32_e32 v3, v3, v33
	v_dual_add_f32 v50, v50, v53 :: v_dual_mul_f32 v53, 0xbf788fa5, v44
	v_fmamk_f32 v44, v60, 0xbe750f2a, v53
	v_fmac_f32_e32 v53, 0x3e750f2a, v60
	v_fmac_f32_e32 v62, 0x3f29c268, v60
	s_delay_alu instid0(VALU_DEP_2) | instskip(SKIP_3) | instid1(VALU_DEP_3)
	v_dual_add_f32 v44, v44, v47 :: v_dual_add_f32 v47, v53, v54
	v_fmamk_f32 v53, v58, 0x3f29c268, v59
	v_fmac_f32_e32 v59, 0xbf29c268, v58
	v_mul_f32_e32 v54, 0x3df6dbef, v2
	v_dual_add_f32 v56, v62, v56 :: v_dual_add_f32 v33, v53, v45
	s_delay_alu instid0(VALU_DEP_3) | instskip(SKIP_2) | instid1(VALU_DEP_2)
	v_add_f32_e32 v51, v59, v51
	v_mul_f32_e32 v45, 0x3f116cb1, v2
	v_mul_f32_e32 v59, 0xbf788fa5, v2
	v_fmamk_f32 v60, v58, 0x3f52af12, v45
	v_fmac_f32_e32 v45, 0xbf52af12, v58
	s_delay_alu instid0(VALU_DEP_2) | instskip(NEXT) | instid1(VALU_DEP_2)
	v_dual_add_f32 v50, v60, v50 :: v_dual_fmamk_f32 v53, v58, 0xbf7e222b, v54
	v_dual_add_f32 v45, v45, v52 :: v_dual_mul_f32 v52, 0x3f62ad3f, v2
	s_delay_alu instid0(VALU_DEP_2) | instskip(NEXT) | instid1(VALU_DEP_2)
	v_dual_add_f32 v49, v53, v49 :: v_dual_fmac_f32 v54, 0x3f7e222b, v58
	v_fmamk_f32 v1, v58, 0xbeedf032, v52
	s_delay_alu instid0(VALU_DEP_2) | instskip(SKIP_2) | instid1(VALU_DEP_3)
	v_dual_mul_f32 v2, 0xbeb58ec6, v2 :: v_dual_add_f32 v53, v54, v56
	v_fmamk_f32 v54, v58, 0xbe750f2a, v59
	v_fmac_f32_e32 v59, 0x3e750f2a, v58
	v_dual_add_f32 v1, v1, v44 :: v_dual_fmamk_f32 v56, v58, 0x3f6f5d39, v2
	v_fmac_f32_e32 v52, 0x3eedf032, v58
	s_delay_alu instid0(VALU_DEP_3) | instskip(SKIP_1) | instid1(VALU_DEP_3)
	v_dual_add_f32 v54, v54, v57 :: v_dual_add_f32 v55, v59, v55
	v_sub_f32_e32 v57, v91, v92
	v_dual_mul_f32 v59, 0xbf788fa5, v0 :: v_dual_add_f32 v44, v52, v47
	v_add_f32_e32 v47, v56, v48
	v_mul_f32_e32 v52, 0x3f62ad3f, v0
	s_delay_alu instid0(VALU_DEP_3) | instskip(SKIP_1) | instid1(VALU_DEP_1)
	v_fmamk_f32 v48, v57, 0x3e750f2a, v59
	v_fmac_f32_e32 v59, 0xbe750f2a, v57
	v_dual_add_f32 v33, v48, v33 :: v_dual_add_f32 v48, v59, v51
	s_delay_alu instid0(VALU_DEP_4) | instskip(SKIP_1) | instid1(VALU_DEP_2)
	v_fmamk_f32 v51, v57, 0xbeedf032, v52
	v_fmac_f32_e32 v2, 0xbf6f5d39, v58
	v_dual_mul_f32 v58, 0x3f116cb1, v0 :: v_dual_add_f32 v49, v51, v49
	s_delay_alu instid0(VALU_DEP_2) | instskip(NEXT) | instid1(VALU_DEP_1)
	v_dual_add_f32 v2, v2, v3 :: v_dual_mul_f32 v3, 0xbf3f9e67, v0
	v_fmamk_f32 v56, v57, 0x3f29c268, v3
	v_fmac_f32_e32 v3, 0xbf29c268, v57
	s_delay_alu instid0(VALU_DEP_1) | instskip(SKIP_2) | instid1(VALU_DEP_2)
	v_add_f32_e32 v3, v3, v45
	v_fmamk_f32 v45, v57, 0xbf52af12, v58
	v_fmac_f32_e32 v52, 0x3eedf032, v57
	v_dual_fmac_f32 v58, 0x3f52af12, v57 :: v_dual_add_f32 v45, v45, v54
	s_delay_alu instid0(VALU_DEP_2) | instskip(SKIP_4) | instid1(VALU_DEP_4)
	v_add_f32_e32 v51, v52, v53
	v_mul_u32_u24_e32 v52, 52, v90
	v_mul_f32_e32 v53, 0xbeb58ec6, v0
	v_mul_f32_e32 v0, 0x3df6dbef, v0
	v_add_f32_e32 v54, v58, v55
	v_or_b32_e32 v25, v52, v25
	s_delay_alu instid0(VALU_DEP_4) | instskip(NEXT) | instid1(VALU_DEP_4)
	v_fmamk_f32 v52, v57, 0x3f6f5d39, v53
	v_fmamk_f32 v55, v57, 0xbf7e222b, v0
	v_fmac_f32_e32 v0, 0x3f7e222b, v57
	v_fmac_f32_e32 v53, 0xbf6f5d39, v57
	v_lshl_add_u32 v25, v25, 2, 0
	v_add_f32_e32 v1, v52, v1
	v_dual_add_f32 v50, v56, v50 :: v_dual_add_f32 v47, v55, v47
	v_add_f32_e32 v0, v0, v2
	v_add_f32_e32 v2, v53, v44
	ds_store_2addr_b32 v25, v46, v33 offset1:4
	ds_store_2addr_b32 v25, v49, v50 offset0:8 offset1:12
	ds_store_2addr_b32 v25, v45, v1 offset0:16 offset1:20
	;; [unrolled: 1-line block ×5, first 2 shown]
	ds_store_b32 v25, v48 offset:192
.LBB0_19:
	s_or_b32 exec_lo, exec_lo, s1
	v_mov_b32_e32 v25, 0
	v_and_b32_e32 v33, 0xff, v89
	v_and_b32_e32 v45, 0xffff, v85
	s_waitcnt lgkmcnt(0)
	s_barrier
	v_lshlrev_b64 v[0:1], 3, v[24:25]
	v_and_b32_e32 v24, 0xff, v88
	v_and_b32_e32 v44, 0xffff, v87
	v_mul_lo_u16 v33, 0x4f, v33
	v_mul_u32_u24_e32 v99, 0x4ec5, v45
	buffer_gl0_inv
	v_mul_lo_u16 v24, 0x4f, v24
	v_mul_u32_u24_e32 v80, 0x4ec5, v44
	v_and_b32_e32 v44, 0xffff, v84
	v_lshrrev_b16 v33, 12, v33
	v_add_co_u32 v2, s0, s4, v0
	v_lshrrev_b16 v24, 12, v24
	v_lshrrev_b32_e32 v46, 20, v80
	v_mul_u32_u24_e32 v98, 0x4ec5, v44
	v_mul_lo_u16 v33, v33, 52
	v_add_co_ci_u32_e64 v3, s0, s5, v1, s0
	v_mul_lo_u16 v24, v24, 52
	v_mul_lo_u16 v44, v46, 52
	v_lshrrev_b32_e32 v45, 20, v98
	v_lshrrev_b32_e32 v46, 20, v99
	v_sub_nc_u16 v33, v89, v33
	v_sub_nc_u16 v24, v88, v24
	;; [unrolled: 1-line block ×3, first 2 shown]
	v_mul_lo_u16 v45, v45, 52
	v_mul_lo_u16 v46, v46, 52
	v_and_b32_e32 v100, 0xff, v33
	v_and_b32_e32 v24, 0xff, v24
	v_and_b32_e32 v101, 0xffff, v44
	v_sub_nc_u16 v33, v84, v45
	v_sub_nc_u16 v44, v85, v46
	v_lshlrev_b32_e32 v48, 3, v100
	v_lshlrev_b32_e32 v46, 3, v24
	;; [unrolled: 1-line block ×3, first 2 shown]
	v_lshrrev_b32_e32 v80, 21, v80
	v_and_b32_e32 v103, 0xffff, v44
	s_clause 0x3
	global_load_b64 v[44:45], v[2:3], off offset:400
	global_load_b64 v[46:47], v46, s[4:5] offset:400
	global_load_b64 v[48:49], v48, s[4:5] offset:400
	;; [unrolled: 1-line block ×3, first 2 shown]
	v_and_b32_e32 v102, 0xffff, v33
	v_and_b32_e32 v33, 0xffff, v86
	;; [unrolled: 1-line block ×6, first 2 shown]
	v_mul_u32_u24_e32 v104, 0x4ec5, v33
	v_mul_u32_u24_e32 v52, 0x4ec5, v52
	v_mul_u32_u24_e32 v54, 0x4ec5, v54
	v_mul_u32_u24_e32 v55, 0x4ec5, v55
	v_mul_u32_u24_e32 v57, 0x4ec5, v57
	v_lshrrev_b32_e32 v56, 20, v104
	v_lshrrev_b32_e32 v52, 20, v52
	v_lshrrev_b32_e32 v54, 20, v54
	v_lshrrev_b32_e32 v55, 20, v55
	v_lshrrev_b32_e32 v57, 20, v57
	v_mul_lo_u16 v56, v56, 52
	v_mul_lo_u16 v52, v52, 52
	v_lshlrev_b32_e32 v53, 3, v102
	v_lshlrev_b32_e32 v33, 3, v103
	v_lshrrev_b32_e32 v98, 21, v98
	v_sub_nc_u16 v56, v86, v56
	v_sub_nc_u16 v31, v31, v52
	v_mul_lo_u16 v52, v54, 52
	v_mul_lo_u16 v54, v55, 52
	;; [unrolled: 1-line block ×3, first 2 shown]
	v_and_b32_e32 v105, 0xffff, v56
	v_and_b32_e32 v106, 0xffff, v31
	v_sub_nc_u16 v31, v83, v52
	v_sub_nc_u16 v52, v81, v54
	;; [unrolled: 1-line block ×3, first 2 shown]
	v_lshlrev_b32_e32 v56, 3, v105
	v_mul_lo_u16 v80, 0x68, v80
	v_and_b32_e32 v107, 0xffff, v31
	v_and_b32_e32 v108, 0xffff, v52
	s_clause 0x1
	global_load_b64 v[52:53], v53, s[4:5] offset:400
	global_load_b64 v[56:57], v56, s[4:5] offset:400
	v_lshlrev_b32_e32 v58, 3, v106
	v_lshrrev_b32_e32 v99, 21, v99
	v_mul_lo_u16 v98, 0x68, v98
	global_load_b64 v[58:59], v58, s[4:5] offset:400
	v_and_b32_e32 v109, 0xffff, v54
	global_load_b64 v[54:55], v33, s[4:5] offset:400
	v_lshlrev_b32_e32 v31, 3, v107
	v_lshlrev_b32_e32 v33, 3, v108
	;; [unrolled: 1-line block ×3, first 2 shown]
	s_clause 0x2
	global_load_b64 v[60:61], v31, s[4:5] offset:400
	global_load_b64 v[62:63], v33, s[4:5] offset:400
	;; [unrolled: 1-line block ×3, first 2 shown]
	ds_load_2addr_b32 v[66:67], v27 offset1:52
	ds_load_2addr_b32 v[68:69], v38 offset0:112 offset1:164
	ds_load_2addr_b32 v[70:71], v27 offset0:104 offset1:156
	;; [unrolled: 1-line block ×11, first 2 shown]
	v_mov_b32_e32 v31, v25
	v_mov_b32_e32 v33, v25
	s_waitcnt vmcnt(0) lgkmcnt(0)
	s_barrier
	buffer_gl0_inv
	v_lshlrev_b64 v[30:31], 3, v[30:31]
	v_lshlrev_b64 v[32:33], 3, v[32:33]
	s_delay_alu instid0(VALU_DEP_2) | instskip(NEXT) | instid1(VALU_DEP_1)
	v_add_co_u32 v30, s0, s4, v30
	v_add_co_ci_u32_e64 v31, s0, s5, v31, s0
	s_delay_alu instid0(VALU_DEP_3) | instskip(NEXT) | instid1(VALU_DEP_1)
	v_add_co_u32 v32, s0, s4, v32
	v_add_co_ci_u32_e64 v33, s0, s5, v33, s0
	v_mul_f32_e32 v110, v68, v45
	v_mul_f32_e32 v111, v36, v45
	;; [unrolled: 1-line block ×4, first 2 shown]
	v_lshl_add_u32 v103, v103, 2, 0
	v_fmac_f32_e32 v110, v36, v44
	v_fma_f32 v36, v68, v44, -v111
	v_fmac_f32_e32 v112, v37, v44
	v_fma_f32 v37, v69, v44, -v45
	v_lshl_add_u32 v24, v24, 2, 0
	v_sub_f32_e32 v45, v34, v110
	v_lshl_add_u32 v100, v100, 2, 0
	v_mul_f32_e32 v110, v76, v51
	v_dual_mul_f32 v51, v22, v51 :: v_dual_sub_f32 v68, v35, v112
	v_lshl_add_u32 v102, v102, 2, 0
	s_delay_alu instid0(VALU_DEP_4) | instskip(NEXT) | instid1(VALU_DEP_4)
	v_add_nc_u32_e32 v100, 0x400, v100
	v_fmac_f32_e32 v110, v22, v50
	s_delay_alu instid0(VALU_DEP_4)
	v_fma_f32 v22, v76, v50, -v51
	v_lshl_add_u32 v101, v101, 2, 0
	v_fma_f32 v34, v34, 2.0, -v45
	v_fma_f32 v35, v35, 2.0, -v68
	v_add_nc_u32_e32 v24, 0x200, v24
	v_add_nc_u32_e32 v102, 0x800, v102
	ds_store_2addr_b32 v27, v34, v45 offset1:52
	ds_store_2addr_b32 v27, v35, v68 offset0:104 offset1:156
	v_lshl_add_u32 v107, v107, 2, 0
	v_dual_sub_f32 v45, v8, v110 :: v_dual_sub_f32 v36, v66, v36
	v_sub_f32_e32 v37, v67, v37
	s_delay_alu instid0(VALU_DEP_2) | instskip(NEXT) | instid1(VALU_DEP_3)
	v_fma_f32 v8, v8, 2.0, -v45
	v_fma_f32 v66, v66, 2.0, -v36
	s_delay_alu instid0(VALU_DEP_3)
	v_fma_f32 v67, v67, 2.0, -v37
	v_mul_f32_e32 v111, v77, v53
	v_mul_f32_e32 v113, v89, v57
	v_lshl_add_u32 v108, v108, 2, 0
	v_lshl_add_u32 v106, v106, 2, 0
	v_mul_f32_e32 v53, v23, v53
	s_delay_alu instid0(VALU_DEP_3)
	v_dual_mul_f32 v57, v21, v57 :: v_dual_add_nc_u32 v44, 0x1000, v108
	v_mul_f32_e32 v114, v92, v59
	v_lshl_add_u32 v109, v109, 2, 0
	v_add_nc_u32_e32 v106, 0xc00, v106
	v_mul_f32_e32 v108, v72, v47
	v_mul_f32_e32 v112, v88, v55
	v_lshl_add_u32 v105, v105, 2, 0
	v_dual_mul_f32 v115, v93, v61 :: v_dual_mul_f32 v116, v96, v63
	v_mul_f32_e32 v63, v14, v63
	v_mul_f32_e32 v117, v97, v65
	v_add_nc_u32_e32 v69, 0x1000, v109
	v_mul_f32_e32 v109, v73, v49
	v_dual_fmac_f32 v116, v14, v62 :: v_dual_add_nc_u32 v103, 0x800, v103
	s_delay_alu instid0(VALU_DEP_4)
	v_fmac_f32_e32 v117, v15, v64
	v_fmac_f32_e32 v115, v17, v60
	v_fma_f32 v14, v96, v62, -v63
	v_fmac_f32_e32 v108, v18, v46
	v_mul_f32_e32 v47, v18, v47
	v_mul_f32_e32 v49, v19, v49
	;; [unrolled: 1-line block ×3, first 2 shown]
	v_dual_fmac_f32 v111, v23, v52 :: v_dual_sub_f32 v14, v94, v14
	v_fma_f32 v23, v77, v52, -v53
	v_dual_sub_f32 v52, v7, v117 :: v_dual_fmac_f32 v113, v21, v56
	v_sub_f32_e32 v50, v11, v115
	v_fmac_f32_e32 v109, v19, v48
	v_mul_f32_e32 v59, v16, v59
	v_mul_f32_e32 v61, v17, v61
	v_dual_mul_f32 v65, v15, v65 :: v_dual_fmac_f32 v112, v20, v54
	v_dual_fmac_f32 v114, v16, v58 :: v_dual_add_nc_u32 v101, 0x400, v101
	v_dual_sub_f32 v34, v4, v108 :: v_dual_add_nc_u32 v105, 0xa00, v105
	v_fma_f32 v18, v72, v46, -v47
	v_fma_f32 v19, v73, v48, -v49
	;; [unrolled: 1-line block ×3, first 2 shown]
	v_sub_f32_e32 v48, v13, v113
	v_dual_sub_f32 v35, v5, v109 :: v_dual_sub_f32 v46, v74, v22
	v_sub_f32_e32 v22, v9, v111
	s_delay_alu instid0(VALU_DEP_4)
	v_sub_f32_e32 v20, v78, v20
	v_fma_f32 v21, v89, v56, -v57
	v_fma_f32 v16, v92, v58, -v59
	;; [unrolled: 1-line block ×4, first 2 shown]
	v_sub_f32_e32 v47, v75, v23
	v_sub_f32_e32 v23, v12, v112
	;; [unrolled: 1-line block ×4, first 2 shown]
	v_fma_f32 v4, v4, 2.0, -v34
	v_dual_sub_f32 v18, v70, v18 :: v_dual_add_nc_u32 v107, 0xc00, v107
	v_fma_f32 v5, v5, 2.0, -v35
	v_dual_sub_f32 v19, v71, v19 :: v_dual_sub_f32 v16, v90, v16
	v_fma_f32 v9, v9, 2.0, -v22
	v_sub_f32_e32 v21, v79, v21
	v_sub_f32_e32 v17, v91, v17
	v_sub_f32_e32 v15, v95, v15
	v_fma_f32 v12, v12, 2.0, -v23
	v_fma_f32 v13, v13, 2.0, -v48
	;; [unrolled: 1-line block ×6, first 2 shown]
	ds_store_2addr_b32 v24, v4, v34 offset0:80 offset1:132
	ds_store_2addr_b32 v100, v5, v35 offset0:56 offset1:108
	;; [unrolled: 1-line block ×10, first 2 shown]
	v_sub_nc_u16 v4, v87, v80
	v_lshrrev_b32_e32 v5, 21, v104
	v_fma_f32 v68, v70, 2.0, -v18
	v_fma_f32 v70, v71, 2.0, -v19
	;; [unrolled: 1-line block ×10, first 2 shown]
	s_waitcnt lgkmcnt(0)
	s_barrier
	buffer_gl0_inv
	ds_load_2addr_b32 v[10:11], v27 offset1:52
	ds_load_2addr_b32 v[22:23], v43 offset0:160 offset1:212
	ds_load_2addr_b32 v[52:53], v40 offset0:64 offset1:116
	;; [unrolled: 1-line block ×11, first 2 shown]
	s_waitcnt lgkmcnt(0)
	s_barrier
	buffer_gl0_inv
	ds_store_2addr_b32 v27, v66, v36 offset1:52
	ds_store_2addr_b32 v27, v67, v37 offset0:104 offset1:156
	ds_store_2addr_b32 v24, v68, v18 offset0:80 offset1:132
	;; [unrolled: 1-line block ×11, first 2 shown]
	v_mul_lo_u16 v24, 0x68, v99
	s_waitcnt lgkmcnt(0)
	s_barrier
	buffer_gl0_inv
	s_clause 0x1
	global_load_b128 v[14:17], v[30:31], off offset:816
	global_load_b128 v[18:21], v[32:33], off offset:816
	v_sub_nc_u16 v30, v84, v98
	v_and_b32_e32 v66, 0xffff, v4
	v_mul_lo_u16 v4, 0x68, v5
	v_sub_nc_u16 v5, v85, v24
	s_delay_alu instid0(VALU_DEP_4) | instskip(NEXT) | instid1(VALU_DEP_4)
	v_and_b32_e32 v24, 0xffff, v30
	v_lshlrev_b32_e32 v30, 4, v66
	s_delay_alu instid0(VALU_DEP_4) | instskip(NEXT) | instid1(VALU_DEP_4)
	v_sub_nc_u16 v4, v86, v4
	v_and_b32_e32 v67, 0xffff, v5
	v_lshl_add_u32 v80, v66, 2, 0
	v_lshlrev_b32_e32 v5, 4, v24
	global_load_b128 v[30:33], v30, s[4:5] offset:816
	v_and_b32_e32 v68, 0xffff, v4
	v_lshlrev_b32_e32 v4, 4, v67
	v_lshl_add_u32 v94, v67, 2, 0
	global_load_b128 v[34:37], v5, s[4:5] offset:816
	v_lshl_add_u32 v24, v24, 2, 0
	v_lshlrev_b32_e32 v5, 4, v68
	s_clause 0x1
	global_load_b128 v[44:47], v4, s[4:5] offset:816
	global_load_b128 v[48:51], v5, s[4:5] offset:816
	ds_load_2addr_b32 v[66:67], v43 offset0:160 offset1:212
	v_lshl_add_u32 v95, v68, 2, 0
	ds_load_2addr_b32 v[68:69], v40 offset0:64 offset1:116
	ds_load_2addr_b32 v[70:71], v27 offset1:52
	ds_load_2addr_b32 v[72:73], v38 offset0:8 offset1:60
	ds_load_2addr_b32 v[74:75], v27 offset0:104 offset1:156
	;; [unrolled: 1-line block ×9, first 2 shown]
	v_add_nc_u32_e32 v97, 0x800, v24
	v_add_co_u32 v4, s0, 0x680, v2
	v_add_nc_u32_e32 v99, 0xe00, v95
	v_add_co_ci_u32_e64 v5, s0, 0, v3, s0
	v_add_nc_u32_e32 v96, 0x800, v80
	v_add_nc_u32_e32 v98, 0xe00, v94
	s_waitcnt vmcnt(0) lgkmcnt(0)
	s_barrier
	buffer_gl0_inv
	v_mul_f32_e32 v100, v66, v15
	v_dual_mul_f32 v101, v22, v15 :: v_dual_mul_f32 v102, v68, v17
	v_dual_mul_f32 v103, v52, v17 :: v_dual_mul_f32 v104, v67, v19
	s_delay_alu instid0(VALU_DEP_3) | instskip(SKIP_4) | instid1(VALU_DEP_4)
	v_dual_mul_f32 v105, v23, v19 :: v_dual_fmac_f32 v100, v22, v14
	v_mul_f32_e32 v106, v69, v21
	v_dual_mul_f32 v107, v53, v21 :: v_dual_mul_f32 v108, v72, v15
	v_dual_mul_f32 v15, v54, v15 :: v_dual_fmac_f32 v102, v52, v16
	v_dual_mul_f32 v109, v76, v17 :: v_dual_fmac_f32 v104, v23, v18
	;; [unrolled: 1-line block ×3, first 2 shown]
	v_mul_f32_e32 v110, v73, v19
	v_dual_mul_f32 v19, v55, v19 :: v_dual_fmac_f32 v108, v54, v14
	v_dual_mul_f32 v112, v84, v31 :: v_dual_mul_f32 v111, v77, v21
	s_delay_alu instid0(VALU_DEP_3) | instskip(SKIP_1) | instid1(VALU_DEP_3)
	v_dual_fmac_f32 v110, v55, v18 :: v_dual_mul_f32 v21, v57, v21
	v_mul_f32_e32 v114, v85, v35
	v_fmac_f32_e32 v112, v58, v30
	v_mul_f32_e32 v31, v58, v31
	v_mul_f32_e32 v116, v90, v45
	;; [unrolled: 1-line block ×3, first 2 shown]
	v_dual_fmac_f32 v114, v59, v34 :: v_dual_mul_f32 v113, v86, v33
	s_delay_alu instid0(VALU_DEP_3)
	v_dual_mul_f32 v33, v60, v33 :: v_dual_fmac_f32 v116, v62, v44
	v_mul_f32_e32 v49, v63, v49
	v_fma_f32 v22, v66, v14, -v101
	v_fma_f32 v52, v68, v16, -v103
	;; [unrolled: 1-line block ×4, first 2 shown]
	v_fmac_f32_e32 v109, v56, v16
	v_fma_f32 v15, v76, v16, -v17
	v_fma_f32 v16, v73, v18, -v19
	v_mul_f32_e32 v117, v92, v47
	v_mul_f32_e32 v47, v64, v47
	;; [unrolled: 1-line block ×7, first 2 shown]
	v_dual_fmac_f32 v111, v57, v20 :: v_dual_sub_f32 v54, v14, v15
	v_fma_f32 v18, v84, v30, -v31
	v_fma_f32 v19, v86, v32, -v33
	v_fmac_f32_e32 v118, v63, v48
	v_fmac_f32_e32 v113, v60, v32
	v_dual_add_f32 v60, v75, v16 :: v_dual_fmac_f32 v117, v64, v46
	s_delay_alu instid0(VALU_DEP_4)
	v_sub_f32_e32 v64, v18, v19
	v_add_f32_e32 v62, v6, v112
	v_fma_f32 v31, v92, v46, -v47
	v_add_f32_e32 v46, v104, v106
	v_fma_f32 v32, v91, v48, -v49
	v_add_f32_e32 v48, v71, v23
	v_dual_mul_f32 v51, v65, v51 :: v_dual_sub_f32 v56, v108, v109
	v_fma_f32 v53, v69, v20, -v107
	v_fma_f32 v17, v77, v20, -v21
	;; [unrolled: 1-line block ×3, first 2 shown]
	v_dual_fmac_f32 v115, v61, v36 :: v_dual_add_f32 v58, v110, v111
	v_fma_f32 v21, v87, v36, -v37
	v_fma_f32 v30, v90, v44, -v45
	;; [unrolled: 1-line block ×3, first 2 shown]
	v_sub_f32_e32 v36, v22, v52
	v_dual_add_f32 v45, v11, v104 :: v_dual_add_f32 v68, v114, v115
	v_add_f32_e32 v51, v108, v109
	v_add_f32_e32 v55, v74, v14
	;; [unrolled: 1-line block ×3, first 2 shown]
	v_dual_add_f32 v37, v70, v22 :: v_dual_sub_f32 v66, v112, v113
	v_dual_add_f32 v22, v22, v52 :: v_dual_add_f32 v57, v13, v110
	v_dual_sub_f32 v86, v116, v117 :: v_dual_fmac_f32 v119, v65, v50
	v_add_f32_e32 v35, v100, v102
	v_dual_sub_f32 v44, v100, v102 :: v_dual_sub_f32 v47, v23, v53
	v_dual_add_f32 v76, v8, v116 :: v_dual_add_f32 v23, v23, v53
	v_dual_sub_f32 v84, v30, v31 :: v_dual_sub_f32 v49, v104, v106
	v_add_f32_e32 v72, v79, v20
	v_dual_add_f32 v50, v12, v108 :: v_dual_sub_f32 v61, v110, v111
	v_dual_add_f32 v92, v89, v32 :: v_dual_add_f32 v65, v78, v18
	v_dual_add_f32 v18, v18, v19 :: v_dual_add_f32 v67, v7, v114
	v_sub_f32_e32 v69, v20, v21
	v_add_f32_e32 v37, v37, v52
	v_fma_f32 v52, -0.5, v22, v70
	v_add_f32_e32 v22, v45, v106
	v_fmac_f32_e32 v11, -0.5, v46
	v_add_f32_e32 v45, v48, v53
	v_fma_f32 v48, -0.5, v14, v74
	v_dual_add_f32 v14, v57, v111 :: v_dual_add_f32 v85, v88, v30
	v_add_f32_e32 v30, v30, v31
	v_fma_f32 v12, -0.5, v51, v12
	v_dual_add_f32 v34, v10, v100 :: v_dual_sub_f32 v59, v16, v17
	v_add_f32_e32 v16, v16, v17
	v_dual_add_f32 v90, v118, v119 :: v_dual_add_f32 v63, v112, v113
	s_delay_alu instid0(VALU_DEP_3)
	v_add_f32_e32 v34, v34, v102
	v_add_f32_e32 v20, v20, v21
	v_dual_add_f32 v77, v116, v117 :: v_dual_add_f32 v46, v55, v15
	v_sub_f32_e32 v73, v114, v115
	v_add_f32_e32 v87, v9, v118
	v_fmac_f32_e32 v71, -0.5, v23
	v_fma_f32 v53, -0.5, v18, v78
	v_add_f32_e32 v55, v72, v21
	v_fmamk_f32 v21, v54, 0xbf5db3d7, v12
	v_dual_fmac_f32 v12, 0x3f5db3d7, v54 :: v_dual_add_f32 v23, v50, v109
	v_add_f32_e32 v50, v60, v17
	v_add_f32_e32 v60, v92, v33
	v_dual_sub_f32 v91, v32, v33 :: v_dual_add_f32 v18, v87, v119
	v_add_f32_e32 v32, v32, v33
	v_fma_f32 v10, -0.5, v35, v10
	v_fmac_f32_e32 v13, -0.5, v58
	v_fma_f32 v6, -0.5, v63, v6
	v_fmac_f32_e32 v7, -0.5, v68
	;; [unrolled: 2-line block ×4, first 2 shown]
	v_sub_f32_e32 v93, v118, v119
	v_fmac_f32_e32 v79, -0.5, v20
	v_fmac_f32_e32 v89, -0.5, v32
	v_add_f32_e32 v51, v65, v19
	v_fmamk_f32 v19, v36, 0xbf5db3d7, v10
	v_fmac_f32_e32 v10, 0x3f5db3d7, v36
	v_fmamk_f32 v36, v44, 0x3f5db3d7, v52
	v_fmac_f32_e32 v52, 0xbf5db3d7, v44
	v_fmamk_f32 v20, v47, 0xbf5db3d7, v11
	v_fmamk_f32 v44, v49, 0x3f5db3d7, v71
	v_fmac_f32_e32 v11, 0x3f5db3d7, v47
	v_dual_fmac_f32 v71, 0xbf5db3d7, v49 :: v_dual_add_f32 v16, v67, v115
	v_dual_add_f32 v17, v76, v117 :: v_dual_fmamk_f32 v32, v69, 0xbf5db3d7, v7
	v_add_f32_e32 v57, v85, v31
	v_fmamk_f32 v47, v56, 0x3f5db3d7, v48
	v_fmac_f32_e32 v48, 0xbf5db3d7, v56
	v_dual_fmamk_f32 v56, v73, 0x3f5db3d7, v79 :: v_dual_add_f32 v15, v62, v113
	v_fmamk_f32 v30, v59, 0xbf5db3d7, v13
	v_fmac_f32_e32 v13, 0x3f5db3d7, v59
	v_fmamk_f32 v31, v64, 0xbf5db3d7, v6
	v_dual_fmac_f32 v6, 0x3f5db3d7, v64 :: v_dual_fmac_f32 v7, 0x3f5db3d7, v69
	v_fmamk_f32 v33, v84, 0xbf5db3d7, v8
	v_fmac_f32_e32 v8, 0x3f5db3d7, v84
	v_fmamk_f32 v35, v91, 0xbf5db3d7, v9
	v_fmac_f32_e32 v9, 0x3f5db3d7, v91
	ds_store_2addr_b32 v27, v34, v22 offset1:52
	ds_store_2addr_b32 v43, v23, v14 offset0:56 offset1:108
	ds_store_2addr_b32 v27, v19, v20 offset0:104 offset1:156
	;; [unrolled: 1-line block ×8, first 2 shown]
	ds_store_b32 v80, v6 offset:3328
	ds_store_b32 v94, v8 offset:4576
	ds_store_2addr_b32 v99, v18, v35 offset0:40 offset1:144
	ds_store_b32 v24, v7 offset:3328
	ds_store_b32 v95, v9 offset:4576
	s_waitcnt lgkmcnt(0)
	s_barrier
	buffer_gl0_inv
	ds_load_2addr_b32 v[6:7], v27 offset1:52
	ds_load_2addr_b32 v[8:9], v38 offset0:112 offset1:164
	ds_load_2addr_b32 v[10:11], v27 offset0:104 offset1:156
	ds_load_2addr_b32 v[12:13], v39 offset0:88 offset1:140
	ds_load_2addr_b32 v[14:15], v41 offset0:80 offset1:132
	ds_load_2addr_b32 v[16:17], v40 offset0:64 offset1:116
	ds_load_2addr_b32 v[18:19], v43 offset0:56 offset1:108
	ds_load_2addr_b32 v[20:21], v40 offset0:168 offset1:220
	ds_load_2addr_b32 v[22:23], v43 offset0:160 offset1:212
	ds_load_2addr_b32 v[30:31], v42 offset0:16 offset1:68
	ds_load_2addr_b32 v[32:33], v38 offset0:8 offset1:60
	ds_load_2addr_b32 v[34:35], v42 offset0:120 offset1:172
	v_fmamk_f32 v59, v86, 0x3f5db3d7, v58
	v_fmac_f32_e32 v58, 0xbf5db3d7, v86
	v_fmamk_f32 v49, v61, 0x3f5db3d7, v75
	v_fmac_f32_e32 v75, 0xbf5db3d7, v61
	;; [unrolled: 2-line block ×3, first 2 shown]
	v_fmac_f32_e32 v79, 0xbf5db3d7, v73
	v_fmamk_f32 v61, v93, 0x3f5db3d7, v89
	v_fmac_f32_e32 v89, 0xbf5db3d7, v93
	s_waitcnt lgkmcnt(0)
	s_barrier
	buffer_gl0_inv
	ds_store_2addr_b32 v27, v37, v45 offset1:52
	ds_store_2addr_b32 v27, v36, v44 offset0:104 offset1:156
	ds_store_2addr_b32 v41, v52, v71 offset0:80 offset1:132
	;; [unrolled: 1-line block ×8, first 2 shown]
	ds_store_b32 v80, v53 offset:3328
	ds_store_b32 v94, v58 offset:4576
	ds_store_2addr_b32 v99, v60, v61 offset0:40 offset1:144
	ds_store_b32 v24, v79 offset:3328
	ds_store_b32 v95, v89 offset:4576
	v_add_co_u32 v36, s0, 0x820, v2
	s_delay_alu instid0(VALU_DEP_1)
	v_add_co_ci_u32_e64 v37, s0, 0, v3, s0
	s_waitcnt lgkmcnt(0)
	s_barrier
	buffer_gl0_inv
	s_clause 0x5
	global_load_b64 v[44:45], v[2:3], off offset:2480
	global_load_b64 v[46:47], v[2:3], off offset:2896
	;; [unrolled: 1-line block ×6, first 2 shown]
	ds_load_2addr_b32 v[56:57], v38 offset0:112 offset1:164
	ds_load_2addr_b32 v[58:59], v39 offset0:88 offset1:140
	ds_load_2addr_b32 v[60:61], v27 offset1:52
	ds_load_2addr_b32 v[62:63], v40 offset0:64 offset1:116
	ds_load_2addr_b32 v[64:65], v27 offset0:104 offset1:156
	ds_load_2addr_b32 v[66:67], v41 offset0:80 offset1:132
	ds_load_2addr_b32 v[68:69], v43 offset0:56 offset1:108
	ds_load_2addr_b32 v[70:71], v40 offset0:168 offset1:220
	ds_load_2addr_b32 v[72:73], v43 offset0:160 offset1:212
	ds_load_2addr_b32 v[74:75], v42 offset0:16 offset1:68
	ds_load_2addr_b32 v[76:77], v38 offset0:8 offset1:60
	ds_load_2addr_b32 v[78:79], v42 offset0:120 offset1:172
	s_waitcnt vmcnt(0) lgkmcnt(0)
	s_barrier
	buffer_gl0_inv
	v_mul_f32_e32 v24, v56, v45
	v_mul_f32_e32 v88, v59, v51
	v_dual_mul_f32 v90, v62, v53 :: v_dual_mul_f32 v99, v79, v55
	v_mul_f32_e32 v91, v16, v53
	v_dual_mul_f32 v98, v78, v53 :: v_dual_mul_f32 v85, v9, v47
	s_delay_alu instid0(VALU_DEP_3) | instskip(SKIP_4) | instid1(VALU_DEP_4)
	v_dual_mul_f32 v86, v58, v49 :: v_dual_fmac_f32 v99, v35, v54
	v_mul_f32_e32 v53, v34, v53
	v_dual_mul_f32 v96, v74, v49 :: v_dual_mul_f32 v97, v75, v51
	v_dual_fmac_f32 v88, v13, v50 :: v_dual_mul_f32 v87, v12, v49
	v_fmac_f32_e32 v98, v34, v52
	v_fma_f32 v34, v78, v52, -v53
	v_dual_mul_f32 v49, v30, v49 :: v_dual_mul_f32 v92, v63, v55
	v_dual_mul_f32 v95, v71, v47 :: v_dual_fmac_f32 v96, v30, v48
	v_fmac_f32_e32 v97, v31, v50
	s_delay_alu instid0(VALU_DEP_3)
	v_fma_f32 v30, v74, v48, -v49
	v_mul_f32_e32 v80, v8, v45
	v_mul_f32_e32 v84, v57, v47
	v_dual_mul_f32 v94, v70, v45 :: v_dual_mul_f32 v47, v21, v47
	v_fmac_f32_e32 v86, v12, v48
	v_fma_f32 v12, v58, v48, -v87
	v_mul_f32_e32 v89, v13, v51
	v_dual_mul_f32 v51, v31, v51 :: v_dual_fmac_f32 v90, v16, v52
	v_fma_f32 v16, v62, v52, -v91
	v_fmac_f32_e32 v92, v17, v54
	v_mul_f32_e32 v93, v17, v55
	v_fmac_f32_e32 v95, v21, v46
	v_sub_f32_e32 v52, v72, v30
	v_sub_f32_e32 v30, v23, v97
	v_mul_f32_e32 v45, v20, v45
	v_dual_mul_f32 v55, v35, v55 :: v_dual_fmac_f32 v24, v8, v44
	v_fma_f32 v8, v56, v44, -v80
	v_fmac_f32_e32 v84, v9, v46
	v_fma_f32 v9, v57, v46, -v85
	v_fmac_f32_e32 v94, v20, v44
	v_fma_f32 v20, v70, v44, -v45
	v_fma_f32 v21, v71, v46, -v47
	;; [unrolled: 1-line block ×3, first 2 shown]
	v_sub_f32_e32 v46, v64, v12
	v_fma_f32 v13, v59, v50, -v89
	v_sub_f32_e32 v48, v66, v16
	v_sub_f32_e32 v16, v15, v92
	v_fma_f32 v17, v63, v54, -v93
	v_fma_f32 v35, v79, v54, -v55
	v_sub_f32_e32 v24, v6, v24
	v_sub_f32_e32 v44, v60, v8
	v_dual_sub_f32 v8, v7, v84 :: v_dual_sub_f32 v45, v61, v9
	v_dual_sub_f32 v9, v10, v86 :: v_dual_sub_f32 v12, v11, v88
	v_sub_f32_e32 v47, v65, v13
	v_sub_f32_e32 v13, v14, v90
	;; [unrolled: 1-line block ×3, first 2 shown]
	v_dual_sub_f32 v17, v18, v94 :: v_dual_sub_f32 v50, v68, v20
	v_dual_sub_f32 v20, v19, v95 :: v_dual_sub_f32 v51, v69, v21
	v_sub_f32_e32 v21, v22, v96
	v_sub_f32_e32 v53, v73, v31
	;; [unrolled: 1-line block ×5, first 2 shown]
	v_fma_f32 v6, v6, 2.0, -v24
	v_fma_f32 v7, v7, 2.0, -v8
	;; [unrolled: 1-line block ×12, first 2 shown]
	v_sub_f32_e32 v55, v77, v35
	ds_store_2addr_b32 v43, v24, v8 offset0:56 offset1:108
	ds_store_2addr_b32 v43, v9, v12 offset0:160 offset1:212
	;; [unrolled: 1-line block ×6, first 2 shown]
	ds_store_2addr_b32 v27, v6, v7 offset1:52
	ds_store_2addr_b32 v27, v10, v11 offset0:104 offset1:156
	ds_store_2addr_b32 v41, v14, v15 offset0:80 offset1:132
	;; [unrolled: 1-line block ×5, first 2 shown]
	s_waitcnt lgkmcnt(0)
	s_barrier
	buffer_gl0_inv
	ds_load_2addr_b32 v[6:7], v27 offset1:52
	ds_load_2addr_b32 v[16:17], v38 offset0:112 offset1:164
	ds_load_2addr_b32 v[8:9], v27 offset0:104 offset1:156
	;; [unrolled: 1-line block ×11, first 2 shown]
	v_fma_f32 v56, v60, 2.0, -v44
	v_fma_f32 v57, v61, 2.0, -v45
	;; [unrolled: 1-line block ×12, first 2 shown]
	s_waitcnt lgkmcnt(0)
	s_barrier
	buffer_gl0_inv
	ds_store_2addr_b32 v27, v56, v57 offset1:52
	ds_store_2addr_b32 v43, v44, v45 offset0:56 offset1:108
	ds_store_2addr_b32 v27, v58, v59 offset0:104 offset1:156
	;; [unrolled: 1-line block ×11, first 2 shown]
	s_waitcnt lgkmcnt(0)
	s_barrier
	buffer_gl0_inv
	s_and_saveexec_b32 s0, vcc_lo
	s_cbranch_execz .LBB0_21
; %bb.20:
	v_add_co_u32 v38, vcc_lo, 0x2000, v2
	v_add_co_ci_u32_e32 v39, vcc_lo, 0, v3, vcc_lo
	v_add_co_u32 v40, vcc_lo, 0x1000, v2
	v_add_co_ci_u32_e32 v41, vcc_lo, 0, v3, vcc_lo
	;; [unrolled: 2-line block ×3, first 2 shown]
	s_clause 0x6
	global_load_b64 v[42:43], v[38:39], off offset:1360
	global_load_b64 v[44:45], v[38:39], off offset:944
	;; [unrolled: 1-line block ×7, first 2 shown]
	v_add_co_u32 v4, vcc_lo, 0x1000, v4
	v_add_co_ci_u32_e32 v5, vcc_lo, 0, v5, vcc_lo
	v_add_co_u32 v24, vcc_lo, 0x1a0, v2
	v_add_co_ci_u32_e32 v55, vcc_lo, 0, v3, vcc_lo
	;; [unrolled: 2-line block ×4, first 2 shown]
	s_delay_alu instid0(VALU_DEP_4) | instskip(NEXT) | instid1(VALU_DEP_4)
	v_add_co_u32 v2, vcc_lo, 0x1000, v52
	v_add_co_ci_u32_e32 v3, vcc_lo, 0, v53, vcc_lo
	s_delay_alu instid0(VALU_DEP_4)
	v_add_co_u32 v52, vcc_lo, 0x1000, v54
	s_clause 0x1
	global_load_b64 v[4:5], v[4:5], off offset:880
	global_load_b64 v[40:41], v[40:41], off offset:880
	v_add_co_ci_u32_e32 v53, vcc_lo, 0, v56, vcc_lo
	v_add_co_u32 v54, vcc_lo, 0x1000, v24
	v_add_co_ci_u32_e32 v55, vcc_lo, 0, v55, vcc_lo
	s_clause 0x2
	global_load_b64 v[2:3], v[2:3], off offset:880
	global_load_b64 v[52:53], v[52:53], off offset:880
	;; [unrolled: 1-line block ×3, first 2 shown]
	v_add_nc_u32_e32 v24, 0x800, v27
	v_lshrrev_b32_e32 v78, 4, v83
	v_add_nc_u32_e32 v64, 0x1000, v27
	v_add_nc_u32_e32 v66, 0x400, v27
	v_add_co_u32 v89, vcc_lo, s8, v28
	v_add_nc_u32_e32 v72, 0xc00, v27
	v_add_nc_u32_e32 v70, 0x200, v27
	v_add_nc_u32_e32 v74, 0xa00, v27
	ds_load_2addr_b32 v[56:57], v27 offset0:104 offset1:156
	ds_load_2addr_b32 v[58:59], v27 offset1:52
	v_add_co_ci_u32_e32 v90, vcc_lo, s9, v29, vcc_lo
	v_mov_b32_e32 v27, v25
	v_lshrrev_b32_e32 v79, 4, v81
	v_lshrrev_b32_e32 v80, 4, v82
	v_add_co_u32 v0, vcc_lo, v89, v0
	v_add_co_ci_u32_e32 v1, vcc_lo, v90, v1, vcc_lo
	s_delay_alu instid0(VALU_DEP_4) | instskip(NEXT) | instid1(VALU_DEP_4)
	v_mul_hi_u32 v83, 0x1a41a41b, v79
	v_mul_hi_u32 v80, 0x1a41a41b, v80
	v_lshlrev_b64 v[26:27], 3, v[26:27]
	s_delay_alu instid0(VALU_DEP_3) | instskip(NEXT) | instid1(VALU_DEP_3)
	v_lshrrev_b32_e32 v87, 2, v83
	v_lshrrev_b32_e32 v88, 2, v80
	s_waitcnt vmcnt(10)
	v_mul_f32_e32 v93, v34, v45
	ds_load_2addr_b32 v[28:29], v24 offset0:8 offset1:60
	ds_load_2addr_b32 v[60:61], v64 offset0:120 offset1:172
	;; [unrolled: 1-line block ×10, first 2 shown]
	v_mul_hi_u32 v24, 0x1a41a41b, v78
	s_waitcnt vmcnt(9)
	v_mul_f32_e32 v94, v33, v47
	v_add_co_u32 v78, vcc_lo, 0x1000, v0
	v_add_co_ci_u32_e32 v79, vcc_lo, 0, v1, vcc_lo
	v_add_co_u32 v83, vcc_lo, 0x2000, v0
	v_lshrrev_b32_e32 v24, 2, v24
	s_waitcnt vmcnt(5)
	v_mul_f32_e32 v97, v30, v51
	v_add_co_ci_u32_e32 v84, vcc_lo, 0, v1, vcc_lo
	s_waitcnt lgkmcnt(8)
	v_mul_f32_e32 v45, v60, v45
	v_mul_u32_u24_e32 v24, 0x270, v24
	v_add_co_u32 v26, vcc_lo, v89, v26
	v_add_co_ci_u32_e32 v27, vcc_lo, v90, v27, vcc_lo
	s_delay_alu instid0(VALU_DEP_3)
	v_lshlrev_b64 v[85:86], 3, v[24:25]
	v_mad_u32_u24 v24, 0x270, v87, v81
	v_mul_f32_e32 v96, v31, v49
	s_waitcnt lgkmcnt(4)
	v_mul_f32_e32 v49, v69, v49
	s_waitcnt lgkmcnt(2)
	v_mul_f32_e32 v99, v73, v37
	v_fmac_f32_e32 v45, v34, v44
	v_lshlrev_b64 v[80:81], 3, v[24:25]
	v_mad_u32_u24 v24, 0x270, v88, v82
	v_mul_f32_e32 v82, v35, v43
	v_mul_f32_e32 v43, v61, v43
	s_waitcnt vmcnt(3) lgkmcnt(0)
	v_mul_f32_e32 v101, v76, v41
	v_fma_f32 v34, v46, v65, -v94
	v_fmac_f32_e32 v49, v31, v48
	v_mul_f32_e32 v51, v68, v51
	v_dual_mul_f32 v47, v65, v47 :: v_dual_mul_f32 v98, v23, v37
	v_mul_f32_e32 v37, v22, v5
	v_mul_f32_e32 v5, v72, v5
	;; [unrolled: 1-line block ×3, first 2 shown]
	v_fma_f32 v41, v42, v61, -v82
	v_mul_f32_e32 v95, v32, v39
	v_fmac_f32_e32 v43, v35, v42
	v_fma_f32 v42, v50, v68, -v97
	v_fmac_f32_e32 v99, v23, v36
	v_dual_sub_f32 v31, v63, v34 :: v_dual_sub_f32 v34, v13, v49
	s_waitcnt vmcnt(2)
	v_dual_fmac_f32 v51, v30, v50 :: v_dual_mul_f32 v50, v75, v3
	v_mul_f32_e32 v39, v64, v39
	v_add_co_u32 v85, vcc_lo, v0, v85
	v_add_co_ci_u32_e32 v86, vcc_lo, v1, v86, vcc_lo
	v_fma_f32 v35, v44, v60, -v93
	s_waitcnt vmcnt(1)
	v_dual_fmac_f32 v47, v33, v46 :: v_dual_mul_f32 v60, v20, v53
	v_fma_f32 v46, v4, v72, -v37
	v_dual_fmac_f32 v5, v22, v4 :: v_dual_fmac_f32 v50, v21, v2
	v_mul_f32_e32 v53, v74, v53
	s_waitcnt vmcnt(0)
	v_mul_f32_e32 v61, v17, v55
	v_fmac_f32_e32 v101, v16, v40
	v_mul_f32_e32 v55, v77, v55
	v_sub_f32_e32 v4, v29, v41
	v_fma_f32 v33, v38, v64, -v95
	v_sub_f32_e32 v22, v18, v45
	v_dual_sub_f32 v16, v6, v101 :: v_dual_fmac_f32 v39, v32, v38
	v_sub_f32_e32 v30, v15, v47
	v_fma_f32 v38, v48, v69, -v96
	v_mul_f32_e32 v48, v21, v3
	v_lshlrev_b64 v[24:25], 3, v[24:25]
	v_add_co_u32 v87, vcc_lo, 0x2000, v85
	v_add_co_ci_u32_e32 v88, vcc_lo, 0, v86, vcc_lo
	v_fma_f32 v44, v36, v73, -v98
	v_add_co_u32 v80, vcc_lo, v89, v80
	v_fma_f32 v64, v40, v76, -v100
	v_sub_f32_e32 v40, v10, v5
	v_fma_f32 v5, v2, v75, -v48
	v_fma_f32 v2, v52, v74, -v60
	;; [unrolled: 1-line block ×3, first 2 shown]
	v_fmac_f32_e32 v55, v17, v54
	v_dual_sub_f32 v48, v9, v50 :: v_dual_fmac_f32 v53, v20, v52
	v_add_co_ci_u32_e32 v81, vcc_lo, v90, v81, vcc_lo
	v_add_co_u32 v24, vcc_lo, v89, v24
	v_sub_f32_e32 v23, v28, v35
	v_sub_f32_e32 v35, v67, v38
	v_dual_sub_f32 v38, v11, v99 :: v_dual_sub_f32 v41, v70, v46
	v_dual_sub_f32 v32, v14, v39 :: v_dual_sub_f32 v39, v71, v44
	v_add_co_ci_u32_e32 v25, vcc_lo, v90, v25, vcc_lo
	v_dual_sub_f32 v37, v66, v42 :: v_dual_sub_f32 v36, v12, v51
	v_add_co_u32 v89, vcc_lo, 0x1000, v80
	v_dual_sub_f32 v3, v19, v43 :: v_dual_sub_f32 v50, v8, v53
	v_sub_f32_e32 v33, v62, v33
	v_sub_f32_e32 v17, v58, v64
	;; [unrolled: 1-line block ×6, first 2 shown]
	v_add_co_ci_u32_e32 v90, vcc_lo, 0, v81, vcc_lo
	v_fma_f32 v46, v11, 2.0, -v38
	v_fma_f32 v11, v70, 2.0, -v41
	;; [unrolled: 1-line block ×3, first 2 shown]
	v_add_co_u32 v91, vcc_lo, 0x1000, v24
	v_fma_f32 v47, v71, 2.0, -v39
	v_fma_f32 v44, v13, 2.0, -v34
	;; [unrolled: 1-line block ×4, first 2 shown]
	v_add_co_ci_u32_e32 v92, vcc_lo, 0, v25, vcc_lo
	v_fma_f32 v20, v29, 2.0, -v4
	v_fma_f32 v19, v19, 2.0, -v3
	;; [unrolled: 1-line block ×11, first 2 shown]
	s_clause 0x2
	global_store_b64 v[26:27], v[40:41], off
	global_store_b64 v[83:84], v[32:33], off offset:128
	global_store_b64 v[87:88], v[30:31], off offset:544
	v_fma_f32 v6, v57, 2.0, -v49
	v_fma_f32 v5, v9, 2.0, -v48
	;; [unrolled: 1-line block ×6, first 2 shown]
	s_clause 0x14
	global_store_b64 v[78:79], v[52:53], off offset:1312
	global_store_b64 v[78:79], v[50:51], off offset:1728
	;; [unrolled: 1-line block ×13, first 2 shown]
	global_store_b64 v[0:1], v[54:55], off
	global_store_b64 v[0:1], v[26:27], off offset:416
	global_store_b64 v[0:1], v[8:9], off offset:832
	;; [unrolled: 1-line block ×3, first 2 shown]
	global_store_b64 v[80:81], v[28:29], off
	global_store_b64 v[89:90], v[22:23], off offset:896
	global_store_b64 v[24:25], v[19:20], off
	global_store_b64 v[91:92], v[3:4], off offset:896
.LBB0_21:
	s_nop 0
	s_sendmsg sendmsg(MSG_DEALLOC_VGPRS)
	s_endpgm
	.section	.rodata,"a",@progbits
	.p2align	6, 0x0
	.amdhsa_kernel fft_rtc_back_len1248_factors_2_2_13_2_3_2_2_wgs_52_tpt_52_halfLds_sp_ip_CI_unitstride_sbrr_dirReg
		.amdhsa_group_segment_fixed_size 0
		.amdhsa_private_segment_fixed_size 0
		.amdhsa_kernarg_size 88
		.amdhsa_user_sgpr_count 15
		.amdhsa_user_sgpr_dispatch_ptr 0
		.amdhsa_user_sgpr_queue_ptr 0
		.amdhsa_user_sgpr_kernarg_segment_ptr 1
		.amdhsa_user_sgpr_dispatch_id 0
		.amdhsa_user_sgpr_private_segment_size 0
		.amdhsa_wavefront_size32 1
		.amdhsa_uses_dynamic_stack 0
		.amdhsa_enable_private_segment 0
		.amdhsa_system_sgpr_workgroup_id_x 1
		.amdhsa_system_sgpr_workgroup_id_y 0
		.amdhsa_system_sgpr_workgroup_id_z 0
		.amdhsa_system_sgpr_workgroup_info 0
		.amdhsa_system_vgpr_workitem_id 0
		.amdhsa_next_free_vgpr 146
		.amdhsa_next_free_sgpr 21
		.amdhsa_reserve_vcc 1
		.amdhsa_float_round_mode_32 0
		.amdhsa_float_round_mode_16_64 0
		.amdhsa_float_denorm_mode_32 3
		.amdhsa_float_denorm_mode_16_64 3
		.amdhsa_dx10_clamp 1
		.amdhsa_ieee_mode 1
		.amdhsa_fp16_overflow 0
		.amdhsa_workgroup_processor_mode 1
		.amdhsa_memory_ordered 1
		.amdhsa_forward_progress 0
		.amdhsa_shared_vgpr_count 0
		.amdhsa_exception_fp_ieee_invalid_op 0
		.amdhsa_exception_fp_denorm_src 0
		.amdhsa_exception_fp_ieee_div_zero 0
		.amdhsa_exception_fp_ieee_overflow 0
		.amdhsa_exception_fp_ieee_underflow 0
		.amdhsa_exception_fp_ieee_inexact 0
		.amdhsa_exception_int_div_zero 0
	.end_amdhsa_kernel
	.text
.Lfunc_end0:
	.size	fft_rtc_back_len1248_factors_2_2_13_2_3_2_2_wgs_52_tpt_52_halfLds_sp_ip_CI_unitstride_sbrr_dirReg, .Lfunc_end0-fft_rtc_back_len1248_factors_2_2_13_2_3_2_2_wgs_52_tpt_52_halfLds_sp_ip_CI_unitstride_sbrr_dirReg
                                        ; -- End function
	.section	.AMDGPU.csdata,"",@progbits
; Kernel info:
; codeLenInByte = 17028
; NumSgprs: 23
; NumVgprs: 146
; ScratchSize: 0
; MemoryBound: 0
; FloatMode: 240
; IeeeMode: 1
; LDSByteSize: 0 bytes/workgroup (compile time only)
; SGPRBlocks: 2
; VGPRBlocks: 18
; NumSGPRsForWavesPerEU: 23
; NumVGPRsForWavesPerEU: 146
; Occupancy: 9
; WaveLimiterHint : 1
; COMPUTE_PGM_RSRC2:SCRATCH_EN: 0
; COMPUTE_PGM_RSRC2:USER_SGPR: 15
; COMPUTE_PGM_RSRC2:TRAP_HANDLER: 0
; COMPUTE_PGM_RSRC2:TGID_X_EN: 1
; COMPUTE_PGM_RSRC2:TGID_Y_EN: 0
; COMPUTE_PGM_RSRC2:TGID_Z_EN: 0
; COMPUTE_PGM_RSRC2:TIDIG_COMP_CNT: 0
	.text
	.p2alignl 7, 3214868480
	.fill 96, 4, 3214868480
	.type	__hip_cuid_f793ec0687c42556,@object ; @__hip_cuid_f793ec0687c42556
	.section	.bss,"aw",@nobits
	.globl	__hip_cuid_f793ec0687c42556
__hip_cuid_f793ec0687c42556:
	.byte	0                               ; 0x0
	.size	__hip_cuid_f793ec0687c42556, 1

	.ident	"AMD clang version 19.0.0git (https://github.com/RadeonOpenCompute/llvm-project roc-6.4.0 25133 c7fe45cf4b819c5991fe208aaa96edf142730f1d)"
	.section	".note.GNU-stack","",@progbits
	.addrsig
	.addrsig_sym __hip_cuid_f793ec0687c42556
	.amdgpu_metadata
---
amdhsa.kernels:
  - .args:
      - .actual_access:  read_only
        .address_space:  global
        .offset:         0
        .size:           8
        .value_kind:     global_buffer
      - .offset:         8
        .size:           8
        .value_kind:     by_value
      - .actual_access:  read_only
        .address_space:  global
        .offset:         16
        .size:           8
        .value_kind:     global_buffer
      - .actual_access:  read_only
        .address_space:  global
        .offset:         24
        .size:           8
        .value_kind:     global_buffer
      - .offset:         32
        .size:           8
        .value_kind:     by_value
      - .actual_access:  read_only
        .address_space:  global
        .offset:         40
        .size:           8
        .value_kind:     global_buffer
      - .actual_access:  read_only
        .address_space:  global
        .offset:         48
        .size:           8
        .value_kind:     global_buffer
      - .offset:         56
        .size:           4
        .value_kind:     by_value
      - .actual_access:  read_only
        .address_space:  global
        .offset:         64
        .size:           8
        .value_kind:     global_buffer
      - .actual_access:  read_only
        .address_space:  global
        .offset:         72
        .size:           8
        .value_kind:     global_buffer
      - .address_space:  global
        .offset:         80
        .size:           8
        .value_kind:     global_buffer
    .group_segment_fixed_size: 0
    .kernarg_segment_align: 8
    .kernarg_segment_size: 88
    .language:       OpenCL C
    .language_version:
      - 2
      - 0
    .max_flat_workgroup_size: 52
    .name:           fft_rtc_back_len1248_factors_2_2_13_2_3_2_2_wgs_52_tpt_52_halfLds_sp_ip_CI_unitstride_sbrr_dirReg
    .private_segment_fixed_size: 0
    .sgpr_count:     23
    .sgpr_spill_count: 0
    .symbol:         fft_rtc_back_len1248_factors_2_2_13_2_3_2_2_wgs_52_tpt_52_halfLds_sp_ip_CI_unitstride_sbrr_dirReg.kd
    .uniform_work_group_size: 1
    .uses_dynamic_stack: false
    .vgpr_count:     146
    .vgpr_spill_count: 0
    .wavefront_size: 32
    .workgroup_processor_mode: 1
amdhsa.target:   amdgcn-amd-amdhsa--gfx1100
amdhsa.version:
  - 1
  - 2
...

	.end_amdgpu_metadata
